;; amdgpu-corpus repo=ROCm/hipCUB kind=compiled arch=gfx1100 opt=O3
	.text
	.amdgcn_target "amdgcn-amd-amdhsa--gfx1100"
	.amdhsa_code_object_version 6
	.protected	_Z14warp_id_kernelPj    ; -- Begin function _Z14warp_id_kernelPj
	.globl	_Z14warp_id_kernelPj
	.p2align	8
	.type	_Z14warp_id_kernelPj,@function
_Z14warp_id_kernelPj:                   ; @_Z14warp_id_kernelPj
; %bb.0:
	s_clause 0x1
	s_load_b32 s2, s[0:1], 0x14
	s_load_b64 s[0:1], s[0:1], 0x0
	v_bfe_u32 v1, v0, 10, 10
	v_bfe_u32 v2, v0, 20, 10
	v_and_b32_e32 v0, 0x3ff, v0
	s_waitcnt lgkmcnt(0)
	s_lshr_b32 s3, s2, 16
	s_and_b32 s2, s2, 0xffff
	v_mad_u32_u24 v5, v2, s3, v1
	v_mad_u64_u32 v[1:2], null, s15, s2, v[0:1]
	v_mov_b32_e32 v2, 0
	s_delay_alu instid0(VALU_DEP_2) | instskip(NEXT) | instid1(VALU_DEP_2)
	v_mad_u64_u32 v[3:4], null, v5, s2, v[0:1]
	v_lshlrev_b64 v[0:1], 2, v[1:2]
	s_delay_alu instid0(VALU_DEP_1) | instskip(NEXT) | instid1(VALU_DEP_3)
	v_add_co_u32 v0, vcc_lo, s0, v0
	v_lshrrev_b32_e32 v2, 5, v3
	s_delay_alu instid0(VALU_DEP_3)
	v_add_co_ci_u32_e32 v1, vcc_lo, s1, v1, vcc_lo
	global_store_b32 v[0:1], v2, off
	s_nop 0
	s_sendmsg sendmsg(MSG_DEALLOC_VGPRS)
	s_endpgm
	.section	.rodata,"a",@progbits
	.p2align	6, 0x0
	.amdhsa_kernel _Z14warp_id_kernelPj
		.amdhsa_group_segment_fixed_size 0
		.amdhsa_private_segment_fixed_size 0
		.amdhsa_kernarg_size 264
		.amdhsa_user_sgpr_count 15
		.amdhsa_user_sgpr_dispatch_ptr 0
		.amdhsa_user_sgpr_queue_ptr 0
		.amdhsa_user_sgpr_kernarg_segment_ptr 1
		.amdhsa_user_sgpr_dispatch_id 0
		.amdhsa_user_sgpr_private_segment_size 0
		.amdhsa_wavefront_size32 1
		.amdhsa_uses_dynamic_stack 0
		.amdhsa_enable_private_segment 0
		.amdhsa_system_sgpr_workgroup_id_x 1
		.amdhsa_system_sgpr_workgroup_id_y 0
		.amdhsa_system_sgpr_workgroup_id_z 0
		.amdhsa_system_sgpr_workgroup_info 0
		.amdhsa_system_vgpr_workitem_id 2
		.amdhsa_next_free_vgpr 6
		.amdhsa_next_free_sgpr 16
		.amdhsa_reserve_vcc 1
		.amdhsa_float_round_mode_32 0
		.amdhsa_float_round_mode_16_64 0
		.amdhsa_float_denorm_mode_32 3
		.amdhsa_float_denorm_mode_16_64 3
		.amdhsa_dx10_clamp 1
		.amdhsa_ieee_mode 1
		.amdhsa_fp16_overflow 0
		.amdhsa_workgroup_processor_mode 1
		.amdhsa_memory_ordered 1
		.amdhsa_forward_progress 0
		.amdhsa_shared_vgpr_count 0
		.amdhsa_exception_fp_ieee_invalid_op 0
		.amdhsa_exception_fp_denorm_src 0
		.amdhsa_exception_fp_ieee_div_zero 0
		.amdhsa_exception_fp_ieee_overflow 0
		.amdhsa_exception_fp_ieee_underflow 0
		.amdhsa_exception_fp_ieee_inexact 0
		.amdhsa_exception_int_div_zero 0
	.end_amdhsa_kernel
	.text
.Lfunc_end0:
	.size	_Z14warp_id_kernelPj, .Lfunc_end0-_Z14warp_id_kernelPj
                                        ; -- End function
	.section	.AMDGPU.csdata,"",@progbits
; Kernel info:
; codeLenInByte = 144
; NumSgprs: 18
; NumVgprs: 6
; ScratchSize: 0
; MemoryBound: 0
; FloatMode: 240
; IeeeMode: 1
; LDSByteSize: 0 bytes/workgroup (compile time only)
; SGPRBlocks: 2
; VGPRBlocks: 0
; NumSGPRsForWavesPerEU: 18
; NumVGPRsForWavesPerEU: 6
; Occupancy: 16
; WaveLimiterHint : 0
; COMPUTE_PGM_RSRC2:SCRATCH_EN: 0
; COMPUTE_PGM_RSRC2:USER_SGPR: 15
; COMPUTE_PGM_RSRC2:TRAP_HANDLER: 0
; COMPUTE_PGM_RSRC2:TGID_X_EN: 1
; COMPUTE_PGM_RSRC2:TGID_Y_EN: 0
; COMPUTE_PGM_RSRC2:TGID_Z_EN: 0
; COMPUTE_PGM_RSRC2:TIDIG_COMP_CNT: 2
	.section	.text._Z17shuffle_up_kernelILj64E12hip_bfloat16EvPT0_j,"axG",@progbits,_Z17shuffle_up_kernelILj64E12hip_bfloat16EvPT0_j,comdat
	.protected	_Z17shuffle_up_kernelILj64E12hip_bfloat16EvPT0_j ; -- Begin function _Z17shuffle_up_kernelILj64E12hip_bfloat16EvPT0_j
	.globl	_Z17shuffle_up_kernelILj64E12hip_bfloat16EvPT0_j
	.p2align	8
	.type	_Z17shuffle_up_kernelILj64E12hip_bfloat16EvPT0_j,@function
_Z17shuffle_up_kernelILj64E12hip_bfloat16EvPT0_j: ; @_Z17shuffle_up_kernelILj64E12hip_bfloat16EvPT0_j
; %bb.0:
	s_clause 0x2
	s_load_b32 s4, s[0:1], 0x1c
	s_load_b64 s[2:3], s[0:1], 0x0
	s_load_b32 s0, s[0:1], 0x8
	v_mbcnt_lo_u32_b32 v3, -1, 0
	s_waitcnt lgkmcnt(0)
	s_and_b32 s4, s4, 0xffff
	s_delay_alu instid0(VALU_DEP_1) | instskip(SKIP_2) | instid1(VALU_DEP_1)
	v_subrev_nc_u32_e32 v4, s0, v3
	v_mad_u64_u32 v[1:2], null, s15, s4, v[0:1]
	v_mov_b32_e32 v2, 0
	v_lshlrev_b64 v[0:1], 1, v[1:2]
	s_delay_alu instid0(VALU_DEP_1) | instskip(NEXT) | instid1(VALU_DEP_2)
	v_add_co_u32 v0, vcc_lo, s2, v0
	v_add_co_ci_u32_e32 v1, vcc_lo, s3, v1, vcc_lo
	v_cmp_gt_i32_e32 vcc_lo, 0, v4
	global_load_u16 v2, v[0:1], off
	v_cndmask_b32_e32 v3, v4, v3, vcc_lo
	s_delay_alu instid0(VALU_DEP_1)
	v_lshlrev_b32_e32 v3, 2, v3
	s_waitcnt vmcnt(0)
	ds_bpermute_b32 v2, v3, v2
	s_waitcnt lgkmcnt(0)
	global_store_b16 v[0:1], v2, off
	s_nop 0
	s_sendmsg sendmsg(MSG_DEALLOC_VGPRS)
	s_endpgm
	.section	.rodata,"a",@progbits
	.p2align	6, 0x0
	.amdhsa_kernel _Z17shuffle_up_kernelILj64E12hip_bfloat16EvPT0_j
		.amdhsa_group_segment_fixed_size 0
		.amdhsa_private_segment_fixed_size 0
		.amdhsa_kernarg_size 272
		.amdhsa_user_sgpr_count 15
		.amdhsa_user_sgpr_dispatch_ptr 0
		.amdhsa_user_sgpr_queue_ptr 0
		.amdhsa_user_sgpr_kernarg_segment_ptr 1
		.amdhsa_user_sgpr_dispatch_id 0
		.amdhsa_user_sgpr_private_segment_size 0
		.amdhsa_wavefront_size32 1
		.amdhsa_uses_dynamic_stack 0
		.amdhsa_enable_private_segment 0
		.amdhsa_system_sgpr_workgroup_id_x 1
		.amdhsa_system_sgpr_workgroup_id_y 0
		.amdhsa_system_sgpr_workgroup_id_z 0
		.amdhsa_system_sgpr_workgroup_info 0
		.amdhsa_system_vgpr_workitem_id 0
		.amdhsa_next_free_vgpr 5
		.amdhsa_next_free_sgpr 16
		.amdhsa_reserve_vcc 1
		.amdhsa_float_round_mode_32 0
		.amdhsa_float_round_mode_16_64 0
		.amdhsa_float_denorm_mode_32 3
		.amdhsa_float_denorm_mode_16_64 3
		.amdhsa_dx10_clamp 1
		.amdhsa_ieee_mode 1
		.amdhsa_fp16_overflow 0
		.amdhsa_workgroup_processor_mode 1
		.amdhsa_memory_ordered 1
		.amdhsa_forward_progress 0
		.amdhsa_shared_vgpr_count 0
		.amdhsa_exception_fp_ieee_invalid_op 0
		.amdhsa_exception_fp_denorm_src 0
		.amdhsa_exception_fp_ieee_div_zero 0
		.amdhsa_exception_fp_ieee_overflow 0
		.amdhsa_exception_fp_ieee_underflow 0
		.amdhsa_exception_fp_ieee_inexact 0
		.amdhsa_exception_int_div_zero 0
	.end_amdhsa_kernel
	.section	.text._Z17shuffle_up_kernelILj64E12hip_bfloat16EvPT0_j,"axG",@progbits,_Z17shuffle_up_kernelILj64E12hip_bfloat16EvPT0_j,comdat
.Lfunc_end1:
	.size	_Z17shuffle_up_kernelILj64E12hip_bfloat16EvPT0_j, .Lfunc_end1-_Z17shuffle_up_kernelILj64E12hip_bfloat16EvPT0_j
                                        ; -- End function
	.section	.AMDGPU.csdata,"",@progbits
; Kernel info:
; codeLenInByte = 152
; NumSgprs: 18
; NumVgprs: 5
; ScratchSize: 0
; MemoryBound: 0
; FloatMode: 240
; IeeeMode: 1
; LDSByteSize: 0 bytes/workgroup (compile time only)
; SGPRBlocks: 2
; VGPRBlocks: 0
; NumSGPRsForWavesPerEU: 18
; NumVGPRsForWavesPerEU: 5
; Occupancy: 16
; WaveLimiterHint : 0
; COMPUTE_PGM_RSRC2:SCRATCH_EN: 0
; COMPUTE_PGM_RSRC2:USER_SGPR: 15
; COMPUTE_PGM_RSRC2:TRAP_HANDLER: 0
; COMPUTE_PGM_RSRC2:TGID_X_EN: 1
; COMPUTE_PGM_RSRC2:TGID_Y_EN: 0
; COMPUTE_PGM_RSRC2:TGID_Z_EN: 0
; COMPUTE_PGM_RSRC2:TIDIG_COMP_CNT: 0
	.section	.text._Z17shuffle_up_kernelILj64E6__halfEvPT0_j,"axG",@progbits,_Z17shuffle_up_kernelILj64E6__halfEvPT0_j,comdat
	.protected	_Z17shuffle_up_kernelILj64E6__halfEvPT0_j ; -- Begin function _Z17shuffle_up_kernelILj64E6__halfEvPT0_j
	.globl	_Z17shuffle_up_kernelILj64E6__halfEvPT0_j
	.p2align	8
	.type	_Z17shuffle_up_kernelILj64E6__halfEvPT0_j,@function
_Z17shuffle_up_kernelILj64E6__halfEvPT0_j: ; @_Z17shuffle_up_kernelILj64E6__halfEvPT0_j
; %bb.0:
	s_clause 0x2
	s_load_b32 s4, s[0:1], 0x1c
	s_load_b64 s[2:3], s[0:1], 0x0
	s_load_b32 s0, s[0:1], 0x8
	v_mbcnt_lo_u32_b32 v3, -1, 0
	s_waitcnt lgkmcnt(0)
	s_and_b32 s4, s4, 0xffff
	s_delay_alu instid0(VALU_DEP_1) | instskip(SKIP_2) | instid1(VALU_DEP_1)
	v_subrev_nc_u32_e32 v4, s0, v3
	v_mad_u64_u32 v[1:2], null, s15, s4, v[0:1]
	v_mov_b32_e32 v2, 0
	v_lshlrev_b64 v[0:1], 1, v[1:2]
	s_delay_alu instid0(VALU_DEP_1) | instskip(NEXT) | instid1(VALU_DEP_2)
	v_add_co_u32 v0, vcc_lo, s2, v0
	v_add_co_ci_u32_e32 v1, vcc_lo, s3, v1, vcc_lo
	v_cmp_gt_i32_e32 vcc_lo, 0, v4
	global_load_u16 v2, v[0:1], off
	v_cndmask_b32_e32 v3, v4, v3, vcc_lo
	s_delay_alu instid0(VALU_DEP_1)
	v_lshlrev_b32_e32 v3, 2, v3
	s_waitcnt vmcnt(0)
	ds_bpermute_b32 v2, v3, v2
	s_waitcnt lgkmcnt(0)
	global_store_b16 v[0:1], v2, off
	s_nop 0
	s_sendmsg sendmsg(MSG_DEALLOC_VGPRS)
	s_endpgm
	.section	.rodata,"a",@progbits
	.p2align	6, 0x0
	.amdhsa_kernel _Z17shuffle_up_kernelILj64E6__halfEvPT0_j
		.amdhsa_group_segment_fixed_size 0
		.amdhsa_private_segment_fixed_size 0
		.amdhsa_kernarg_size 272
		.amdhsa_user_sgpr_count 15
		.amdhsa_user_sgpr_dispatch_ptr 0
		.amdhsa_user_sgpr_queue_ptr 0
		.amdhsa_user_sgpr_kernarg_segment_ptr 1
		.amdhsa_user_sgpr_dispatch_id 0
		.amdhsa_user_sgpr_private_segment_size 0
		.amdhsa_wavefront_size32 1
		.amdhsa_uses_dynamic_stack 0
		.amdhsa_enable_private_segment 0
		.amdhsa_system_sgpr_workgroup_id_x 1
		.amdhsa_system_sgpr_workgroup_id_y 0
		.amdhsa_system_sgpr_workgroup_id_z 0
		.amdhsa_system_sgpr_workgroup_info 0
		.amdhsa_system_vgpr_workitem_id 0
		.amdhsa_next_free_vgpr 5
		.amdhsa_next_free_sgpr 16
		.amdhsa_reserve_vcc 1
		.amdhsa_float_round_mode_32 0
		.amdhsa_float_round_mode_16_64 0
		.amdhsa_float_denorm_mode_32 3
		.amdhsa_float_denorm_mode_16_64 3
		.amdhsa_dx10_clamp 1
		.amdhsa_ieee_mode 1
		.amdhsa_fp16_overflow 0
		.amdhsa_workgroup_processor_mode 1
		.amdhsa_memory_ordered 1
		.amdhsa_forward_progress 0
		.amdhsa_shared_vgpr_count 0
		.amdhsa_exception_fp_ieee_invalid_op 0
		.amdhsa_exception_fp_denorm_src 0
		.amdhsa_exception_fp_ieee_div_zero 0
		.amdhsa_exception_fp_ieee_overflow 0
		.amdhsa_exception_fp_ieee_underflow 0
		.amdhsa_exception_fp_ieee_inexact 0
		.amdhsa_exception_int_div_zero 0
	.end_amdhsa_kernel
	.section	.text._Z17shuffle_up_kernelILj64E6__halfEvPT0_j,"axG",@progbits,_Z17shuffle_up_kernelILj64E6__halfEvPT0_j,comdat
.Lfunc_end2:
	.size	_Z17shuffle_up_kernelILj64E6__halfEvPT0_j, .Lfunc_end2-_Z17shuffle_up_kernelILj64E6__halfEvPT0_j
                                        ; -- End function
	.section	.AMDGPU.csdata,"",@progbits
; Kernel info:
; codeLenInByte = 152
; NumSgprs: 18
; NumVgprs: 5
; ScratchSize: 0
; MemoryBound: 0
; FloatMode: 240
; IeeeMode: 1
; LDSByteSize: 0 bytes/workgroup (compile time only)
; SGPRBlocks: 2
; VGPRBlocks: 0
; NumSGPRsForWavesPerEU: 18
; NumVGPRsForWavesPerEU: 5
; Occupancy: 16
; WaveLimiterHint : 0
; COMPUTE_PGM_RSRC2:SCRATCH_EN: 0
; COMPUTE_PGM_RSRC2:USER_SGPR: 15
; COMPUTE_PGM_RSRC2:TRAP_HANDLER: 0
; COMPUTE_PGM_RSRC2:TGID_X_EN: 1
; COMPUTE_PGM_RSRC2:TGID_Y_EN: 0
; COMPUTE_PGM_RSRC2:TGID_Z_EN: 0
; COMPUTE_PGM_RSRC2:TIDIG_COMP_CNT: 0
	.section	.text._Z17shuffle_up_kernelILj64EhEvPT0_j,"axG",@progbits,_Z17shuffle_up_kernelILj64EhEvPT0_j,comdat
	.protected	_Z17shuffle_up_kernelILj64EhEvPT0_j ; -- Begin function _Z17shuffle_up_kernelILj64EhEvPT0_j
	.globl	_Z17shuffle_up_kernelILj64EhEvPT0_j
	.p2align	8
	.type	_Z17shuffle_up_kernelILj64EhEvPT0_j,@function
_Z17shuffle_up_kernelILj64EhEvPT0_j:    ; @_Z17shuffle_up_kernelILj64EhEvPT0_j
; %bb.0:
	s_clause 0x2
	s_load_b32 s4, s[0:1], 0x1c
	s_load_b64 s[2:3], s[0:1], 0x0
	s_load_b32 s0, s[0:1], 0x8
	s_waitcnt lgkmcnt(0)
	s_and_b32 s4, s4, 0xffff
	s_delay_alu instid0(SALU_CYCLE_1) | instskip(SKIP_1) | instid1(VALU_DEP_1)
	v_mad_u64_u32 v[1:2], null, s15, s4, v[0:1]
	v_mbcnt_lo_u32_b32 v2, -1, 0
	v_subrev_nc_u32_e32 v3, s0, v2
	global_load_u8 v0, v1, s[2:3]
	v_cmp_gt_i32_e32 vcc_lo, 0, v3
	v_cndmask_b32_e32 v2, v3, v2, vcc_lo
	s_delay_alu instid0(VALU_DEP_1)
	v_lshlrev_b32_e32 v2, 2, v2
	s_waitcnt vmcnt(0)
	ds_bpermute_b32 v0, v2, v0
	s_waitcnt lgkmcnt(0)
	global_store_b8 v1, v0, s[2:3]
	s_nop 0
	s_sendmsg sendmsg(MSG_DEALLOC_VGPRS)
	s_endpgm
	.section	.rodata,"a",@progbits
	.p2align	6, 0x0
	.amdhsa_kernel _Z17shuffle_up_kernelILj64EhEvPT0_j
		.amdhsa_group_segment_fixed_size 0
		.amdhsa_private_segment_fixed_size 0
		.amdhsa_kernarg_size 272
		.amdhsa_user_sgpr_count 15
		.amdhsa_user_sgpr_dispatch_ptr 0
		.amdhsa_user_sgpr_queue_ptr 0
		.amdhsa_user_sgpr_kernarg_segment_ptr 1
		.amdhsa_user_sgpr_dispatch_id 0
		.amdhsa_user_sgpr_private_segment_size 0
		.amdhsa_wavefront_size32 1
		.amdhsa_uses_dynamic_stack 0
		.amdhsa_enable_private_segment 0
		.amdhsa_system_sgpr_workgroup_id_x 1
		.amdhsa_system_sgpr_workgroup_id_y 0
		.amdhsa_system_sgpr_workgroup_id_z 0
		.amdhsa_system_sgpr_workgroup_info 0
		.amdhsa_system_vgpr_workitem_id 0
		.amdhsa_next_free_vgpr 4
		.amdhsa_next_free_sgpr 16
		.amdhsa_reserve_vcc 1
		.amdhsa_float_round_mode_32 0
		.amdhsa_float_round_mode_16_64 0
		.amdhsa_float_denorm_mode_32 3
		.amdhsa_float_denorm_mode_16_64 3
		.amdhsa_dx10_clamp 1
		.amdhsa_ieee_mode 1
		.amdhsa_fp16_overflow 0
		.amdhsa_workgroup_processor_mode 1
		.amdhsa_memory_ordered 1
		.amdhsa_forward_progress 0
		.amdhsa_shared_vgpr_count 0
		.amdhsa_exception_fp_ieee_invalid_op 0
		.amdhsa_exception_fp_denorm_src 0
		.amdhsa_exception_fp_ieee_div_zero 0
		.amdhsa_exception_fp_ieee_overflow 0
		.amdhsa_exception_fp_ieee_underflow 0
		.amdhsa_exception_fp_ieee_inexact 0
		.amdhsa_exception_int_div_zero 0
	.end_amdhsa_kernel
	.section	.text._Z17shuffle_up_kernelILj64EhEvPT0_j,"axG",@progbits,_Z17shuffle_up_kernelILj64EhEvPT0_j,comdat
.Lfunc_end3:
	.size	_Z17shuffle_up_kernelILj64EhEvPT0_j, .Lfunc_end3-_Z17shuffle_up_kernelILj64EhEvPT0_j
                                        ; -- End function
	.section	.AMDGPU.csdata,"",@progbits
; Kernel info:
; codeLenInByte = 124
; NumSgprs: 18
; NumVgprs: 4
; ScratchSize: 0
; MemoryBound: 0
; FloatMode: 240
; IeeeMode: 1
; LDSByteSize: 0 bytes/workgroup (compile time only)
; SGPRBlocks: 2
; VGPRBlocks: 0
; NumSGPRsForWavesPerEU: 18
; NumVGPRsForWavesPerEU: 4
; Occupancy: 16
; WaveLimiterHint : 0
; COMPUTE_PGM_RSRC2:SCRATCH_EN: 0
; COMPUTE_PGM_RSRC2:USER_SGPR: 15
; COMPUTE_PGM_RSRC2:TRAP_HANDLER: 0
; COMPUTE_PGM_RSRC2:TGID_X_EN: 1
; COMPUTE_PGM_RSRC2:TGID_Y_EN: 0
; COMPUTE_PGM_RSRC2:TGID_Z_EN: 0
; COMPUTE_PGM_RSRC2:TIDIG_COMP_CNT: 0
	.section	.text._Z17shuffle_up_kernelILj64EdEvPT0_j,"axG",@progbits,_Z17shuffle_up_kernelILj64EdEvPT0_j,comdat
	.protected	_Z17shuffle_up_kernelILj64EdEvPT0_j ; -- Begin function _Z17shuffle_up_kernelILj64EdEvPT0_j
	.globl	_Z17shuffle_up_kernelILj64EdEvPT0_j
	.p2align	8
	.type	_Z17shuffle_up_kernelILj64EdEvPT0_j,@function
_Z17shuffle_up_kernelILj64EdEvPT0_j:    ; @_Z17shuffle_up_kernelILj64EdEvPT0_j
; %bb.0:
	s_clause 0x2
	s_load_b32 s4, s[0:1], 0x1c
	s_load_b64 s[2:3], s[0:1], 0x0
	s_load_b32 s0, s[0:1], 0x8
	v_mbcnt_lo_u32_b32 v4, -1, 0
	s_waitcnt lgkmcnt(0)
	s_and_b32 s4, s4, 0xffff
	s_delay_alu instid0(VALU_DEP_1) | instskip(SKIP_2) | instid1(VALU_DEP_1)
	v_subrev_nc_u32_e32 v5, s0, v4
	v_mad_u64_u32 v[1:2], null, s15, s4, v[0:1]
	v_mov_b32_e32 v2, 0
	v_lshlrev_b64 v[0:1], 3, v[1:2]
	s_delay_alu instid0(VALU_DEP_1) | instskip(NEXT) | instid1(VALU_DEP_2)
	v_add_co_u32 v0, vcc_lo, s2, v0
	v_add_co_ci_u32_e32 v1, vcc_lo, s3, v1, vcc_lo
	v_cmp_gt_i32_e32 vcc_lo, 0, v5
	global_load_b64 v[2:3], v[0:1], off
	v_cndmask_b32_e32 v4, v5, v4, vcc_lo
	s_delay_alu instid0(VALU_DEP_1)
	v_lshlrev_b32_e32 v4, 2, v4
	s_waitcnt vmcnt(0)
	ds_bpermute_b32 v2, v4, v2
	ds_bpermute_b32 v3, v4, v3
	s_waitcnt lgkmcnt(0)
	global_store_b64 v[0:1], v[2:3], off
	s_nop 0
	s_sendmsg sendmsg(MSG_DEALLOC_VGPRS)
	s_endpgm
	.section	.rodata,"a",@progbits
	.p2align	6, 0x0
	.amdhsa_kernel _Z17shuffle_up_kernelILj64EdEvPT0_j
		.amdhsa_group_segment_fixed_size 0
		.amdhsa_private_segment_fixed_size 0
		.amdhsa_kernarg_size 272
		.amdhsa_user_sgpr_count 15
		.amdhsa_user_sgpr_dispatch_ptr 0
		.amdhsa_user_sgpr_queue_ptr 0
		.amdhsa_user_sgpr_kernarg_segment_ptr 1
		.amdhsa_user_sgpr_dispatch_id 0
		.amdhsa_user_sgpr_private_segment_size 0
		.amdhsa_wavefront_size32 1
		.amdhsa_uses_dynamic_stack 0
		.amdhsa_enable_private_segment 0
		.amdhsa_system_sgpr_workgroup_id_x 1
		.amdhsa_system_sgpr_workgroup_id_y 0
		.amdhsa_system_sgpr_workgroup_id_z 0
		.amdhsa_system_sgpr_workgroup_info 0
		.amdhsa_system_vgpr_workitem_id 0
		.amdhsa_next_free_vgpr 6
		.amdhsa_next_free_sgpr 16
		.amdhsa_reserve_vcc 1
		.amdhsa_float_round_mode_32 0
		.amdhsa_float_round_mode_16_64 0
		.amdhsa_float_denorm_mode_32 3
		.amdhsa_float_denorm_mode_16_64 3
		.amdhsa_dx10_clamp 1
		.amdhsa_ieee_mode 1
		.amdhsa_fp16_overflow 0
		.amdhsa_workgroup_processor_mode 1
		.amdhsa_memory_ordered 1
		.amdhsa_forward_progress 0
		.amdhsa_shared_vgpr_count 0
		.amdhsa_exception_fp_ieee_invalid_op 0
		.amdhsa_exception_fp_denorm_src 0
		.amdhsa_exception_fp_ieee_div_zero 0
		.amdhsa_exception_fp_ieee_overflow 0
		.amdhsa_exception_fp_ieee_underflow 0
		.amdhsa_exception_fp_ieee_inexact 0
		.amdhsa_exception_int_div_zero 0
	.end_amdhsa_kernel
	.section	.text._Z17shuffle_up_kernelILj64EdEvPT0_j,"axG",@progbits,_Z17shuffle_up_kernelILj64EdEvPT0_j,comdat
.Lfunc_end4:
	.size	_Z17shuffle_up_kernelILj64EdEvPT0_j, .Lfunc_end4-_Z17shuffle_up_kernelILj64EdEvPT0_j
                                        ; -- End function
	.section	.AMDGPU.csdata,"",@progbits
; Kernel info:
; codeLenInByte = 160
; NumSgprs: 18
; NumVgprs: 6
; ScratchSize: 0
; MemoryBound: 0
; FloatMode: 240
; IeeeMode: 1
; LDSByteSize: 0 bytes/workgroup (compile time only)
; SGPRBlocks: 2
; VGPRBlocks: 0
; NumSGPRsForWavesPerEU: 18
; NumVGPRsForWavesPerEU: 6
; Occupancy: 16
; WaveLimiterHint : 0
; COMPUTE_PGM_RSRC2:SCRATCH_EN: 0
; COMPUTE_PGM_RSRC2:USER_SGPR: 15
; COMPUTE_PGM_RSRC2:TRAP_HANDLER: 0
; COMPUTE_PGM_RSRC2:TGID_X_EN: 1
; COMPUTE_PGM_RSRC2:TGID_Y_EN: 0
; COMPUTE_PGM_RSRC2:TGID_Z_EN: 0
; COMPUTE_PGM_RSRC2:TIDIG_COMP_CNT: 0
	.section	.text._Z17shuffle_up_kernelILj64EfEvPT0_j,"axG",@progbits,_Z17shuffle_up_kernelILj64EfEvPT0_j,comdat
	.protected	_Z17shuffle_up_kernelILj64EfEvPT0_j ; -- Begin function _Z17shuffle_up_kernelILj64EfEvPT0_j
	.globl	_Z17shuffle_up_kernelILj64EfEvPT0_j
	.p2align	8
	.type	_Z17shuffle_up_kernelILj64EfEvPT0_j,@function
_Z17shuffle_up_kernelILj64EfEvPT0_j:    ; @_Z17shuffle_up_kernelILj64EfEvPT0_j
; %bb.0:
	s_clause 0x2
	s_load_b32 s4, s[0:1], 0x1c
	s_load_b64 s[2:3], s[0:1], 0x0
	s_load_b32 s0, s[0:1], 0x8
	v_mbcnt_lo_u32_b32 v3, -1, 0
	s_waitcnt lgkmcnt(0)
	s_and_b32 s4, s4, 0xffff
	s_delay_alu instid0(VALU_DEP_1) | instskip(SKIP_2) | instid1(VALU_DEP_1)
	v_subrev_nc_u32_e32 v4, s0, v3
	v_mad_u64_u32 v[1:2], null, s15, s4, v[0:1]
	v_mov_b32_e32 v2, 0
	v_lshlrev_b64 v[0:1], 2, v[1:2]
	s_delay_alu instid0(VALU_DEP_1) | instskip(NEXT) | instid1(VALU_DEP_2)
	v_add_co_u32 v0, vcc_lo, s2, v0
	v_add_co_ci_u32_e32 v1, vcc_lo, s3, v1, vcc_lo
	v_cmp_gt_i32_e32 vcc_lo, 0, v4
	global_load_b32 v2, v[0:1], off
	v_cndmask_b32_e32 v3, v4, v3, vcc_lo
	s_delay_alu instid0(VALU_DEP_1)
	v_lshlrev_b32_e32 v3, 2, v3
	s_waitcnt vmcnt(0)
	ds_bpermute_b32 v2, v3, v2
	s_waitcnt lgkmcnt(0)
	global_store_b32 v[0:1], v2, off
	s_nop 0
	s_sendmsg sendmsg(MSG_DEALLOC_VGPRS)
	s_endpgm
	.section	.rodata,"a",@progbits
	.p2align	6, 0x0
	.amdhsa_kernel _Z17shuffle_up_kernelILj64EfEvPT0_j
		.amdhsa_group_segment_fixed_size 0
		.amdhsa_private_segment_fixed_size 0
		.amdhsa_kernarg_size 272
		.amdhsa_user_sgpr_count 15
		.amdhsa_user_sgpr_dispatch_ptr 0
		.amdhsa_user_sgpr_queue_ptr 0
		.amdhsa_user_sgpr_kernarg_segment_ptr 1
		.amdhsa_user_sgpr_dispatch_id 0
		.amdhsa_user_sgpr_private_segment_size 0
		.amdhsa_wavefront_size32 1
		.amdhsa_uses_dynamic_stack 0
		.amdhsa_enable_private_segment 0
		.amdhsa_system_sgpr_workgroup_id_x 1
		.amdhsa_system_sgpr_workgroup_id_y 0
		.amdhsa_system_sgpr_workgroup_id_z 0
		.amdhsa_system_sgpr_workgroup_info 0
		.amdhsa_system_vgpr_workitem_id 0
		.amdhsa_next_free_vgpr 5
		.amdhsa_next_free_sgpr 16
		.amdhsa_reserve_vcc 1
		.amdhsa_float_round_mode_32 0
		.amdhsa_float_round_mode_16_64 0
		.amdhsa_float_denorm_mode_32 3
		.amdhsa_float_denorm_mode_16_64 3
		.amdhsa_dx10_clamp 1
		.amdhsa_ieee_mode 1
		.amdhsa_fp16_overflow 0
		.amdhsa_workgroup_processor_mode 1
		.amdhsa_memory_ordered 1
		.amdhsa_forward_progress 0
		.amdhsa_shared_vgpr_count 0
		.amdhsa_exception_fp_ieee_invalid_op 0
		.amdhsa_exception_fp_denorm_src 0
		.amdhsa_exception_fp_ieee_div_zero 0
		.amdhsa_exception_fp_ieee_overflow 0
		.amdhsa_exception_fp_ieee_underflow 0
		.amdhsa_exception_fp_ieee_inexact 0
		.amdhsa_exception_int_div_zero 0
	.end_amdhsa_kernel
	.section	.text._Z17shuffle_up_kernelILj64EfEvPT0_j,"axG",@progbits,_Z17shuffle_up_kernelILj64EfEvPT0_j,comdat
.Lfunc_end5:
	.size	_Z17shuffle_up_kernelILj64EfEvPT0_j, .Lfunc_end5-_Z17shuffle_up_kernelILj64EfEvPT0_j
                                        ; -- End function
	.section	.AMDGPU.csdata,"",@progbits
; Kernel info:
; codeLenInByte = 152
; NumSgprs: 18
; NumVgprs: 5
; ScratchSize: 0
; MemoryBound: 0
; FloatMode: 240
; IeeeMode: 1
; LDSByteSize: 0 bytes/workgroup (compile time only)
; SGPRBlocks: 2
; VGPRBlocks: 0
; NumSGPRsForWavesPerEU: 18
; NumVGPRsForWavesPerEU: 5
; Occupancy: 16
; WaveLimiterHint : 0
; COMPUTE_PGM_RSRC2:SCRATCH_EN: 0
; COMPUTE_PGM_RSRC2:USER_SGPR: 15
; COMPUTE_PGM_RSRC2:TRAP_HANDLER: 0
; COMPUTE_PGM_RSRC2:TGID_X_EN: 1
; COMPUTE_PGM_RSRC2:TGID_Y_EN: 0
; COMPUTE_PGM_RSRC2:TGID_Z_EN: 0
; COMPUTE_PGM_RSRC2:TIDIG_COMP_CNT: 0
	.section	.text._Z17shuffle_up_kernelILj32EhEvPT0_j,"axG",@progbits,_Z17shuffle_up_kernelILj32EhEvPT0_j,comdat
	.protected	_Z17shuffle_up_kernelILj32EhEvPT0_j ; -- Begin function _Z17shuffle_up_kernelILj32EhEvPT0_j
	.globl	_Z17shuffle_up_kernelILj32EhEvPT0_j
	.p2align	8
	.type	_Z17shuffle_up_kernelILj32EhEvPT0_j,@function
_Z17shuffle_up_kernelILj32EhEvPT0_j:    ; @_Z17shuffle_up_kernelILj32EhEvPT0_j
; %bb.0:
	s_clause 0x2
	s_load_b32 s4, s[0:1], 0x1c
	s_load_b64 s[2:3], s[0:1], 0x0
	s_load_b32 s0, s[0:1], 0x8
	s_waitcnt lgkmcnt(0)
	s_and_b32 s4, s4, 0xffff
	s_delay_alu instid0(SALU_CYCLE_1) | instskip(SKIP_1) | instid1(VALU_DEP_1)
	v_mad_u64_u32 v[1:2], null, s15, s4, v[0:1]
	v_mbcnt_lo_u32_b32 v2, -1, 0
	v_subrev_nc_u32_e32 v3, s0, v2
	global_load_u8 v0, v1, s[2:3]
	v_cmp_gt_i32_e32 vcc_lo, 0, v3
	v_cndmask_b32_e32 v2, v3, v2, vcc_lo
	s_delay_alu instid0(VALU_DEP_1)
	v_lshlrev_b32_e32 v2, 2, v2
	s_waitcnt vmcnt(0)
	ds_bpermute_b32 v0, v2, v0
	s_waitcnt lgkmcnt(0)
	global_store_b8 v1, v0, s[2:3]
	s_nop 0
	s_sendmsg sendmsg(MSG_DEALLOC_VGPRS)
	s_endpgm
	.section	.rodata,"a",@progbits
	.p2align	6, 0x0
	.amdhsa_kernel _Z17shuffle_up_kernelILj32EhEvPT0_j
		.amdhsa_group_segment_fixed_size 0
		.amdhsa_private_segment_fixed_size 0
		.amdhsa_kernarg_size 272
		.amdhsa_user_sgpr_count 15
		.amdhsa_user_sgpr_dispatch_ptr 0
		.amdhsa_user_sgpr_queue_ptr 0
		.amdhsa_user_sgpr_kernarg_segment_ptr 1
		.amdhsa_user_sgpr_dispatch_id 0
		.amdhsa_user_sgpr_private_segment_size 0
		.amdhsa_wavefront_size32 1
		.amdhsa_uses_dynamic_stack 0
		.amdhsa_enable_private_segment 0
		.amdhsa_system_sgpr_workgroup_id_x 1
		.amdhsa_system_sgpr_workgroup_id_y 0
		.amdhsa_system_sgpr_workgroup_id_z 0
		.amdhsa_system_sgpr_workgroup_info 0
		.amdhsa_system_vgpr_workitem_id 0
		.amdhsa_next_free_vgpr 4
		.amdhsa_next_free_sgpr 16
		.amdhsa_reserve_vcc 1
		.amdhsa_float_round_mode_32 0
		.amdhsa_float_round_mode_16_64 0
		.amdhsa_float_denorm_mode_32 3
		.amdhsa_float_denorm_mode_16_64 3
		.amdhsa_dx10_clamp 1
		.amdhsa_ieee_mode 1
		.amdhsa_fp16_overflow 0
		.amdhsa_workgroup_processor_mode 1
		.amdhsa_memory_ordered 1
		.amdhsa_forward_progress 0
		.amdhsa_shared_vgpr_count 0
		.amdhsa_exception_fp_ieee_invalid_op 0
		.amdhsa_exception_fp_denorm_src 0
		.amdhsa_exception_fp_ieee_div_zero 0
		.amdhsa_exception_fp_ieee_overflow 0
		.amdhsa_exception_fp_ieee_underflow 0
		.amdhsa_exception_fp_ieee_inexact 0
		.amdhsa_exception_int_div_zero 0
	.end_amdhsa_kernel
	.section	.text._Z17shuffle_up_kernelILj32EhEvPT0_j,"axG",@progbits,_Z17shuffle_up_kernelILj32EhEvPT0_j,comdat
.Lfunc_end6:
	.size	_Z17shuffle_up_kernelILj32EhEvPT0_j, .Lfunc_end6-_Z17shuffle_up_kernelILj32EhEvPT0_j
                                        ; -- End function
	.section	.AMDGPU.csdata,"",@progbits
; Kernel info:
; codeLenInByte = 124
; NumSgprs: 18
; NumVgprs: 4
; ScratchSize: 0
; MemoryBound: 0
; FloatMode: 240
; IeeeMode: 1
; LDSByteSize: 0 bytes/workgroup (compile time only)
; SGPRBlocks: 2
; VGPRBlocks: 0
; NumSGPRsForWavesPerEU: 18
; NumVGPRsForWavesPerEU: 4
; Occupancy: 16
; WaveLimiterHint : 0
; COMPUTE_PGM_RSRC2:SCRATCH_EN: 0
; COMPUTE_PGM_RSRC2:USER_SGPR: 15
; COMPUTE_PGM_RSRC2:TRAP_HANDLER: 0
; COMPUTE_PGM_RSRC2:TGID_X_EN: 1
; COMPUTE_PGM_RSRC2:TGID_Y_EN: 0
; COMPUTE_PGM_RSRC2:TGID_Z_EN: 0
; COMPUTE_PGM_RSRC2:TIDIG_COMP_CNT: 0
	.section	.text._Z17shuffle_up_kernelILj32E12hip_bfloat16EvPT0_j,"axG",@progbits,_Z17shuffle_up_kernelILj32E12hip_bfloat16EvPT0_j,comdat
	.protected	_Z17shuffle_up_kernelILj32E12hip_bfloat16EvPT0_j ; -- Begin function _Z17shuffle_up_kernelILj32E12hip_bfloat16EvPT0_j
	.globl	_Z17shuffle_up_kernelILj32E12hip_bfloat16EvPT0_j
	.p2align	8
	.type	_Z17shuffle_up_kernelILj32E12hip_bfloat16EvPT0_j,@function
_Z17shuffle_up_kernelILj32E12hip_bfloat16EvPT0_j: ; @_Z17shuffle_up_kernelILj32E12hip_bfloat16EvPT0_j
; %bb.0:
	s_clause 0x2
	s_load_b32 s4, s[0:1], 0x1c
	s_load_b64 s[2:3], s[0:1], 0x0
	s_load_b32 s0, s[0:1], 0x8
	v_mbcnt_lo_u32_b32 v3, -1, 0
	s_waitcnt lgkmcnt(0)
	s_and_b32 s4, s4, 0xffff
	s_delay_alu instid0(VALU_DEP_1) | instskip(SKIP_2) | instid1(VALU_DEP_1)
	v_subrev_nc_u32_e32 v4, s0, v3
	v_mad_u64_u32 v[1:2], null, s15, s4, v[0:1]
	v_mov_b32_e32 v2, 0
	v_lshlrev_b64 v[0:1], 1, v[1:2]
	s_delay_alu instid0(VALU_DEP_1) | instskip(NEXT) | instid1(VALU_DEP_2)
	v_add_co_u32 v0, vcc_lo, s2, v0
	v_add_co_ci_u32_e32 v1, vcc_lo, s3, v1, vcc_lo
	v_cmp_gt_i32_e32 vcc_lo, 0, v4
	global_load_u16 v2, v[0:1], off
	v_cndmask_b32_e32 v3, v4, v3, vcc_lo
	s_delay_alu instid0(VALU_DEP_1)
	v_lshlrev_b32_e32 v3, 2, v3
	s_waitcnt vmcnt(0)
	ds_bpermute_b32 v2, v3, v2
	s_waitcnt lgkmcnt(0)
	global_store_b16 v[0:1], v2, off
	s_nop 0
	s_sendmsg sendmsg(MSG_DEALLOC_VGPRS)
	s_endpgm
	.section	.rodata,"a",@progbits
	.p2align	6, 0x0
	.amdhsa_kernel _Z17shuffle_up_kernelILj32E12hip_bfloat16EvPT0_j
		.amdhsa_group_segment_fixed_size 0
		.amdhsa_private_segment_fixed_size 0
		.amdhsa_kernarg_size 272
		.amdhsa_user_sgpr_count 15
		.amdhsa_user_sgpr_dispatch_ptr 0
		.amdhsa_user_sgpr_queue_ptr 0
		.amdhsa_user_sgpr_kernarg_segment_ptr 1
		.amdhsa_user_sgpr_dispatch_id 0
		.amdhsa_user_sgpr_private_segment_size 0
		.amdhsa_wavefront_size32 1
		.amdhsa_uses_dynamic_stack 0
		.amdhsa_enable_private_segment 0
		.amdhsa_system_sgpr_workgroup_id_x 1
		.amdhsa_system_sgpr_workgroup_id_y 0
		.amdhsa_system_sgpr_workgroup_id_z 0
		.amdhsa_system_sgpr_workgroup_info 0
		.amdhsa_system_vgpr_workitem_id 0
		.amdhsa_next_free_vgpr 5
		.amdhsa_next_free_sgpr 16
		.amdhsa_reserve_vcc 1
		.amdhsa_float_round_mode_32 0
		.amdhsa_float_round_mode_16_64 0
		.amdhsa_float_denorm_mode_32 3
		.amdhsa_float_denorm_mode_16_64 3
		.amdhsa_dx10_clamp 1
		.amdhsa_ieee_mode 1
		.amdhsa_fp16_overflow 0
		.amdhsa_workgroup_processor_mode 1
		.amdhsa_memory_ordered 1
		.amdhsa_forward_progress 0
		.amdhsa_shared_vgpr_count 0
		.amdhsa_exception_fp_ieee_invalid_op 0
		.amdhsa_exception_fp_denorm_src 0
		.amdhsa_exception_fp_ieee_div_zero 0
		.amdhsa_exception_fp_ieee_overflow 0
		.amdhsa_exception_fp_ieee_underflow 0
		.amdhsa_exception_fp_ieee_inexact 0
		.amdhsa_exception_int_div_zero 0
	.end_amdhsa_kernel
	.section	.text._Z17shuffle_up_kernelILj32E12hip_bfloat16EvPT0_j,"axG",@progbits,_Z17shuffle_up_kernelILj32E12hip_bfloat16EvPT0_j,comdat
.Lfunc_end7:
	.size	_Z17shuffle_up_kernelILj32E12hip_bfloat16EvPT0_j, .Lfunc_end7-_Z17shuffle_up_kernelILj32E12hip_bfloat16EvPT0_j
                                        ; -- End function
	.section	.AMDGPU.csdata,"",@progbits
; Kernel info:
; codeLenInByte = 152
; NumSgprs: 18
; NumVgprs: 5
; ScratchSize: 0
; MemoryBound: 0
; FloatMode: 240
; IeeeMode: 1
; LDSByteSize: 0 bytes/workgroup (compile time only)
; SGPRBlocks: 2
; VGPRBlocks: 0
; NumSGPRsForWavesPerEU: 18
; NumVGPRsForWavesPerEU: 5
; Occupancy: 16
; WaveLimiterHint : 0
; COMPUTE_PGM_RSRC2:SCRATCH_EN: 0
; COMPUTE_PGM_RSRC2:USER_SGPR: 15
; COMPUTE_PGM_RSRC2:TRAP_HANDLER: 0
; COMPUTE_PGM_RSRC2:TGID_X_EN: 1
; COMPUTE_PGM_RSRC2:TGID_Y_EN: 0
; COMPUTE_PGM_RSRC2:TGID_Z_EN: 0
; COMPUTE_PGM_RSRC2:TIDIG_COMP_CNT: 0
	.section	.text._Z17shuffle_up_kernelILj32E6__halfEvPT0_j,"axG",@progbits,_Z17shuffle_up_kernelILj32E6__halfEvPT0_j,comdat
	.protected	_Z17shuffle_up_kernelILj32E6__halfEvPT0_j ; -- Begin function _Z17shuffle_up_kernelILj32E6__halfEvPT0_j
	.globl	_Z17shuffle_up_kernelILj32E6__halfEvPT0_j
	.p2align	8
	.type	_Z17shuffle_up_kernelILj32E6__halfEvPT0_j,@function
_Z17shuffle_up_kernelILj32E6__halfEvPT0_j: ; @_Z17shuffle_up_kernelILj32E6__halfEvPT0_j
; %bb.0:
	s_clause 0x2
	s_load_b32 s4, s[0:1], 0x1c
	s_load_b64 s[2:3], s[0:1], 0x0
	s_load_b32 s0, s[0:1], 0x8
	v_mbcnt_lo_u32_b32 v3, -1, 0
	s_waitcnt lgkmcnt(0)
	s_and_b32 s4, s4, 0xffff
	s_delay_alu instid0(VALU_DEP_1) | instskip(SKIP_2) | instid1(VALU_DEP_1)
	v_subrev_nc_u32_e32 v4, s0, v3
	v_mad_u64_u32 v[1:2], null, s15, s4, v[0:1]
	v_mov_b32_e32 v2, 0
	v_lshlrev_b64 v[0:1], 1, v[1:2]
	s_delay_alu instid0(VALU_DEP_1) | instskip(NEXT) | instid1(VALU_DEP_2)
	v_add_co_u32 v0, vcc_lo, s2, v0
	v_add_co_ci_u32_e32 v1, vcc_lo, s3, v1, vcc_lo
	v_cmp_gt_i32_e32 vcc_lo, 0, v4
	global_load_u16 v2, v[0:1], off
	v_cndmask_b32_e32 v3, v4, v3, vcc_lo
	s_delay_alu instid0(VALU_DEP_1)
	v_lshlrev_b32_e32 v3, 2, v3
	s_waitcnt vmcnt(0)
	ds_bpermute_b32 v2, v3, v2
	s_waitcnt lgkmcnt(0)
	global_store_b16 v[0:1], v2, off
	s_nop 0
	s_sendmsg sendmsg(MSG_DEALLOC_VGPRS)
	s_endpgm
	.section	.rodata,"a",@progbits
	.p2align	6, 0x0
	.amdhsa_kernel _Z17shuffle_up_kernelILj32E6__halfEvPT0_j
		.amdhsa_group_segment_fixed_size 0
		.amdhsa_private_segment_fixed_size 0
		.amdhsa_kernarg_size 272
		.amdhsa_user_sgpr_count 15
		.amdhsa_user_sgpr_dispatch_ptr 0
		.amdhsa_user_sgpr_queue_ptr 0
		.amdhsa_user_sgpr_kernarg_segment_ptr 1
		.amdhsa_user_sgpr_dispatch_id 0
		.amdhsa_user_sgpr_private_segment_size 0
		.amdhsa_wavefront_size32 1
		.amdhsa_uses_dynamic_stack 0
		.amdhsa_enable_private_segment 0
		.amdhsa_system_sgpr_workgroup_id_x 1
		.amdhsa_system_sgpr_workgroup_id_y 0
		.amdhsa_system_sgpr_workgroup_id_z 0
		.amdhsa_system_sgpr_workgroup_info 0
		.amdhsa_system_vgpr_workitem_id 0
		.amdhsa_next_free_vgpr 5
		.amdhsa_next_free_sgpr 16
		.amdhsa_reserve_vcc 1
		.amdhsa_float_round_mode_32 0
		.amdhsa_float_round_mode_16_64 0
		.amdhsa_float_denorm_mode_32 3
		.amdhsa_float_denorm_mode_16_64 3
		.amdhsa_dx10_clamp 1
		.amdhsa_ieee_mode 1
		.amdhsa_fp16_overflow 0
		.amdhsa_workgroup_processor_mode 1
		.amdhsa_memory_ordered 1
		.amdhsa_forward_progress 0
		.amdhsa_shared_vgpr_count 0
		.amdhsa_exception_fp_ieee_invalid_op 0
		.amdhsa_exception_fp_denorm_src 0
		.amdhsa_exception_fp_ieee_div_zero 0
		.amdhsa_exception_fp_ieee_overflow 0
		.amdhsa_exception_fp_ieee_underflow 0
		.amdhsa_exception_fp_ieee_inexact 0
		.amdhsa_exception_int_div_zero 0
	.end_amdhsa_kernel
	.section	.text._Z17shuffle_up_kernelILj32E6__halfEvPT0_j,"axG",@progbits,_Z17shuffle_up_kernelILj32E6__halfEvPT0_j,comdat
.Lfunc_end8:
	.size	_Z17shuffle_up_kernelILj32E6__halfEvPT0_j, .Lfunc_end8-_Z17shuffle_up_kernelILj32E6__halfEvPT0_j
                                        ; -- End function
	.section	.AMDGPU.csdata,"",@progbits
; Kernel info:
; codeLenInByte = 152
; NumSgprs: 18
; NumVgprs: 5
; ScratchSize: 0
; MemoryBound: 0
; FloatMode: 240
; IeeeMode: 1
; LDSByteSize: 0 bytes/workgroup (compile time only)
; SGPRBlocks: 2
; VGPRBlocks: 0
; NumSGPRsForWavesPerEU: 18
; NumVGPRsForWavesPerEU: 5
; Occupancy: 16
; WaveLimiterHint : 0
; COMPUTE_PGM_RSRC2:SCRATCH_EN: 0
; COMPUTE_PGM_RSRC2:USER_SGPR: 15
; COMPUTE_PGM_RSRC2:TRAP_HANDLER: 0
; COMPUTE_PGM_RSRC2:TGID_X_EN: 1
; COMPUTE_PGM_RSRC2:TGID_Y_EN: 0
; COMPUTE_PGM_RSRC2:TGID_Z_EN: 0
; COMPUTE_PGM_RSRC2:TIDIG_COMP_CNT: 0
	.section	.text._Z17shuffle_up_kernelILj32EdEvPT0_j,"axG",@progbits,_Z17shuffle_up_kernelILj32EdEvPT0_j,comdat
	.protected	_Z17shuffle_up_kernelILj32EdEvPT0_j ; -- Begin function _Z17shuffle_up_kernelILj32EdEvPT0_j
	.globl	_Z17shuffle_up_kernelILj32EdEvPT0_j
	.p2align	8
	.type	_Z17shuffle_up_kernelILj32EdEvPT0_j,@function
_Z17shuffle_up_kernelILj32EdEvPT0_j:    ; @_Z17shuffle_up_kernelILj32EdEvPT0_j
; %bb.0:
	s_clause 0x2
	s_load_b32 s4, s[0:1], 0x1c
	s_load_b64 s[2:3], s[0:1], 0x0
	s_load_b32 s0, s[0:1], 0x8
	v_mbcnt_lo_u32_b32 v4, -1, 0
	s_waitcnt lgkmcnt(0)
	s_and_b32 s4, s4, 0xffff
	s_delay_alu instid0(VALU_DEP_1) | instskip(SKIP_2) | instid1(VALU_DEP_1)
	v_subrev_nc_u32_e32 v5, s0, v4
	v_mad_u64_u32 v[1:2], null, s15, s4, v[0:1]
	v_mov_b32_e32 v2, 0
	v_lshlrev_b64 v[0:1], 3, v[1:2]
	s_delay_alu instid0(VALU_DEP_1) | instskip(NEXT) | instid1(VALU_DEP_2)
	v_add_co_u32 v0, vcc_lo, s2, v0
	v_add_co_ci_u32_e32 v1, vcc_lo, s3, v1, vcc_lo
	v_cmp_gt_i32_e32 vcc_lo, 0, v5
	global_load_b64 v[2:3], v[0:1], off
	v_cndmask_b32_e32 v4, v5, v4, vcc_lo
	s_delay_alu instid0(VALU_DEP_1)
	v_lshlrev_b32_e32 v4, 2, v4
	s_waitcnt vmcnt(0)
	ds_bpermute_b32 v2, v4, v2
	ds_bpermute_b32 v3, v4, v3
	s_waitcnt lgkmcnt(0)
	global_store_b64 v[0:1], v[2:3], off
	s_nop 0
	s_sendmsg sendmsg(MSG_DEALLOC_VGPRS)
	s_endpgm
	.section	.rodata,"a",@progbits
	.p2align	6, 0x0
	.amdhsa_kernel _Z17shuffle_up_kernelILj32EdEvPT0_j
		.amdhsa_group_segment_fixed_size 0
		.amdhsa_private_segment_fixed_size 0
		.amdhsa_kernarg_size 272
		.amdhsa_user_sgpr_count 15
		.amdhsa_user_sgpr_dispatch_ptr 0
		.amdhsa_user_sgpr_queue_ptr 0
		.amdhsa_user_sgpr_kernarg_segment_ptr 1
		.amdhsa_user_sgpr_dispatch_id 0
		.amdhsa_user_sgpr_private_segment_size 0
		.amdhsa_wavefront_size32 1
		.amdhsa_uses_dynamic_stack 0
		.amdhsa_enable_private_segment 0
		.amdhsa_system_sgpr_workgroup_id_x 1
		.amdhsa_system_sgpr_workgroup_id_y 0
		.amdhsa_system_sgpr_workgroup_id_z 0
		.amdhsa_system_sgpr_workgroup_info 0
		.amdhsa_system_vgpr_workitem_id 0
		.amdhsa_next_free_vgpr 6
		.amdhsa_next_free_sgpr 16
		.amdhsa_reserve_vcc 1
		.amdhsa_float_round_mode_32 0
		.amdhsa_float_round_mode_16_64 0
		.amdhsa_float_denorm_mode_32 3
		.amdhsa_float_denorm_mode_16_64 3
		.amdhsa_dx10_clamp 1
		.amdhsa_ieee_mode 1
		.amdhsa_fp16_overflow 0
		.amdhsa_workgroup_processor_mode 1
		.amdhsa_memory_ordered 1
		.amdhsa_forward_progress 0
		.amdhsa_shared_vgpr_count 0
		.amdhsa_exception_fp_ieee_invalid_op 0
		.amdhsa_exception_fp_denorm_src 0
		.amdhsa_exception_fp_ieee_div_zero 0
		.amdhsa_exception_fp_ieee_overflow 0
		.amdhsa_exception_fp_ieee_underflow 0
		.amdhsa_exception_fp_ieee_inexact 0
		.amdhsa_exception_int_div_zero 0
	.end_amdhsa_kernel
	.section	.text._Z17shuffle_up_kernelILj32EdEvPT0_j,"axG",@progbits,_Z17shuffle_up_kernelILj32EdEvPT0_j,comdat
.Lfunc_end9:
	.size	_Z17shuffle_up_kernelILj32EdEvPT0_j, .Lfunc_end9-_Z17shuffle_up_kernelILj32EdEvPT0_j
                                        ; -- End function
	.section	.AMDGPU.csdata,"",@progbits
; Kernel info:
; codeLenInByte = 160
; NumSgprs: 18
; NumVgprs: 6
; ScratchSize: 0
; MemoryBound: 0
; FloatMode: 240
; IeeeMode: 1
; LDSByteSize: 0 bytes/workgroup (compile time only)
; SGPRBlocks: 2
; VGPRBlocks: 0
; NumSGPRsForWavesPerEU: 18
; NumVGPRsForWavesPerEU: 6
; Occupancy: 16
; WaveLimiterHint : 0
; COMPUTE_PGM_RSRC2:SCRATCH_EN: 0
; COMPUTE_PGM_RSRC2:USER_SGPR: 15
; COMPUTE_PGM_RSRC2:TRAP_HANDLER: 0
; COMPUTE_PGM_RSRC2:TGID_X_EN: 1
; COMPUTE_PGM_RSRC2:TGID_Y_EN: 0
; COMPUTE_PGM_RSRC2:TGID_Z_EN: 0
; COMPUTE_PGM_RSRC2:TIDIG_COMP_CNT: 0
	.section	.text._Z17shuffle_up_kernelILj32EfEvPT0_j,"axG",@progbits,_Z17shuffle_up_kernelILj32EfEvPT0_j,comdat
	.protected	_Z17shuffle_up_kernelILj32EfEvPT0_j ; -- Begin function _Z17shuffle_up_kernelILj32EfEvPT0_j
	.globl	_Z17shuffle_up_kernelILj32EfEvPT0_j
	.p2align	8
	.type	_Z17shuffle_up_kernelILj32EfEvPT0_j,@function
_Z17shuffle_up_kernelILj32EfEvPT0_j:    ; @_Z17shuffle_up_kernelILj32EfEvPT0_j
; %bb.0:
	s_clause 0x2
	s_load_b32 s4, s[0:1], 0x1c
	s_load_b64 s[2:3], s[0:1], 0x0
	s_load_b32 s0, s[0:1], 0x8
	v_mbcnt_lo_u32_b32 v3, -1, 0
	s_waitcnt lgkmcnt(0)
	s_and_b32 s4, s4, 0xffff
	s_delay_alu instid0(VALU_DEP_1) | instskip(SKIP_2) | instid1(VALU_DEP_1)
	v_subrev_nc_u32_e32 v4, s0, v3
	v_mad_u64_u32 v[1:2], null, s15, s4, v[0:1]
	v_mov_b32_e32 v2, 0
	v_lshlrev_b64 v[0:1], 2, v[1:2]
	s_delay_alu instid0(VALU_DEP_1) | instskip(NEXT) | instid1(VALU_DEP_2)
	v_add_co_u32 v0, vcc_lo, s2, v0
	v_add_co_ci_u32_e32 v1, vcc_lo, s3, v1, vcc_lo
	v_cmp_gt_i32_e32 vcc_lo, 0, v4
	global_load_b32 v2, v[0:1], off
	v_cndmask_b32_e32 v3, v4, v3, vcc_lo
	s_delay_alu instid0(VALU_DEP_1)
	v_lshlrev_b32_e32 v3, 2, v3
	s_waitcnt vmcnt(0)
	ds_bpermute_b32 v2, v3, v2
	s_waitcnt lgkmcnt(0)
	global_store_b32 v[0:1], v2, off
	s_nop 0
	s_sendmsg sendmsg(MSG_DEALLOC_VGPRS)
	s_endpgm
	.section	.rodata,"a",@progbits
	.p2align	6, 0x0
	.amdhsa_kernel _Z17shuffle_up_kernelILj32EfEvPT0_j
		.amdhsa_group_segment_fixed_size 0
		.amdhsa_private_segment_fixed_size 0
		.amdhsa_kernarg_size 272
		.amdhsa_user_sgpr_count 15
		.amdhsa_user_sgpr_dispatch_ptr 0
		.amdhsa_user_sgpr_queue_ptr 0
		.amdhsa_user_sgpr_kernarg_segment_ptr 1
		.amdhsa_user_sgpr_dispatch_id 0
		.amdhsa_user_sgpr_private_segment_size 0
		.amdhsa_wavefront_size32 1
		.amdhsa_uses_dynamic_stack 0
		.amdhsa_enable_private_segment 0
		.amdhsa_system_sgpr_workgroup_id_x 1
		.amdhsa_system_sgpr_workgroup_id_y 0
		.amdhsa_system_sgpr_workgroup_id_z 0
		.amdhsa_system_sgpr_workgroup_info 0
		.amdhsa_system_vgpr_workitem_id 0
		.amdhsa_next_free_vgpr 5
		.amdhsa_next_free_sgpr 16
		.amdhsa_reserve_vcc 1
		.amdhsa_float_round_mode_32 0
		.amdhsa_float_round_mode_16_64 0
		.amdhsa_float_denorm_mode_32 3
		.amdhsa_float_denorm_mode_16_64 3
		.amdhsa_dx10_clamp 1
		.amdhsa_ieee_mode 1
		.amdhsa_fp16_overflow 0
		.amdhsa_workgroup_processor_mode 1
		.amdhsa_memory_ordered 1
		.amdhsa_forward_progress 0
		.amdhsa_shared_vgpr_count 0
		.amdhsa_exception_fp_ieee_invalid_op 0
		.amdhsa_exception_fp_denorm_src 0
		.amdhsa_exception_fp_ieee_div_zero 0
		.amdhsa_exception_fp_ieee_overflow 0
		.amdhsa_exception_fp_ieee_underflow 0
		.amdhsa_exception_fp_ieee_inexact 0
		.amdhsa_exception_int_div_zero 0
	.end_amdhsa_kernel
	.section	.text._Z17shuffle_up_kernelILj32EfEvPT0_j,"axG",@progbits,_Z17shuffle_up_kernelILj32EfEvPT0_j,comdat
.Lfunc_end10:
	.size	_Z17shuffle_up_kernelILj32EfEvPT0_j, .Lfunc_end10-_Z17shuffle_up_kernelILj32EfEvPT0_j
                                        ; -- End function
	.section	.AMDGPU.csdata,"",@progbits
; Kernel info:
; codeLenInByte = 152
; NumSgprs: 18
; NumVgprs: 5
; ScratchSize: 0
; MemoryBound: 0
; FloatMode: 240
; IeeeMode: 1
; LDSByteSize: 0 bytes/workgroup (compile time only)
; SGPRBlocks: 2
; VGPRBlocks: 0
; NumSGPRsForWavesPerEU: 18
; NumVGPRsForWavesPerEU: 5
; Occupancy: 16
; WaveLimiterHint : 0
; COMPUTE_PGM_RSRC2:SCRATCH_EN: 0
; COMPUTE_PGM_RSRC2:USER_SGPR: 15
; COMPUTE_PGM_RSRC2:TRAP_HANDLER: 0
; COMPUTE_PGM_RSRC2:TGID_X_EN: 1
; COMPUTE_PGM_RSRC2:TGID_Y_EN: 0
; COMPUTE_PGM_RSRC2:TGID_Z_EN: 0
; COMPUTE_PGM_RSRC2:TIDIG_COMP_CNT: 0
	.section	.text._Z17shuffle_up_kernelILj2EiEvPT0_j,"axG",@progbits,_Z17shuffle_up_kernelILj2EiEvPT0_j,comdat
	.protected	_Z17shuffle_up_kernelILj2EiEvPT0_j ; -- Begin function _Z17shuffle_up_kernelILj2EiEvPT0_j
	.globl	_Z17shuffle_up_kernelILj2EiEvPT0_j
	.p2align	8
	.type	_Z17shuffle_up_kernelILj2EiEvPT0_j,@function
_Z17shuffle_up_kernelILj2EiEvPT0_j:     ; @_Z17shuffle_up_kernelILj2EiEvPT0_j
; %bb.0:
	s_clause 0x1
	s_load_b32 s4, s[0:1], 0x1c
	s_load_b64 s[2:3], s[0:1], 0x0
	v_mbcnt_lo_u32_b32 v3, -1, 0
	s_load_b32 s0, s[0:1], 0x8
	s_delay_alu instid0(VALU_DEP_1) | instskip(SKIP_2) | instid1(SALU_CYCLE_1)
	v_and_b32_e32 v5, 30, v3
	s_waitcnt lgkmcnt(0)
	s_and_b32 s4, s4, 0xffff
	v_mad_u64_u32 v[1:2], null, s15, s4, v[0:1]
	v_mov_b32_e32 v2, 0
	v_subrev_nc_u32_e32 v4, s0, v3
	s_delay_alu instid0(VALU_DEP_2) | instskip(NEXT) | instid1(VALU_DEP_1)
	v_lshlrev_b64 v[0:1], 2, v[1:2]
	v_add_co_u32 v0, vcc_lo, s2, v0
	s_delay_alu instid0(VALU_DEP_2) | instskip(NEXT) | instid1(VALU_DEP_4)
	v_add_co_ci_u32_e32 v1, vcc_lo, s3, v1, vcc_lo
	v_cmp_lt_i32_e32 vcc_lo, v4, v5
	global_load_b32 v2, v[0:1], off
	v_cndmask_b32_e32 v3, v4, v3, vcc_lo
	s_delay_alu instid0(VALU_DEP_1)
	v_lshlrev_b32_e32 v3, 2, v3
	s_waitcnt vmcnt(0)
	ds_bpermute_b32 v2, v3, v2
	s_waitcnt lgkmcnt(0)
	global_store_b32 v[0:1], v2, off
	s_nop 0
	s_sendmsg sendmsg(MSG_DEALLOC_VGPRS)
	s_endpgm
	.section	.rodata,"a",@progbits
	.p2align	6, 0x0
	.amdhsa_kernel _Z17shuffle_up_kernelILj2EiEvPT0_j
		.amdhsa_group_segment_fixed_size 0
		.amdhsa_private_segment_fixed_size 0
		.amdhsa_kernarg_size 272
		.amdhsa_user_sgpr_count 15
		.amdhsa_user_sgpr_dispatch_ptr 0
		.amdhsa_user_sgpr_queue_ptr 0
		.amdhsa_user_sgpr_kernarg_segment_ptr 1
		.amdhsa_user_sgpr_dispatch_id 0
		.amdhsa_user_sgpr_private_segment_size 0
		.amdhsa_wavefront_size32 1
		.amdhsa_uses_dynamic_stack 0
		.amdhsa_enable_private_segment 0
		.amdhsa_system_sgpr_workgroup_id_x 1
		.amdhsa_system_sgpr_workgroup_id_y 0
		.amdhsa_system_sgpr_workgroup_id_z 0
		.amdhsa_system_sgpr_workgroup_info 0
		.amdhsa_system_vgpr_workitem_id 0
		.amdhsa_next_free_vgpr 6
		.amdhsa_next_free_sgpr 16
		.amdhsa_reserve_vcc 1
		.amdhsa_float_round_mode_32 0
		.amdhsa_float_round_mode_16_64 0
		.amdhsa_float_denorm_mode_32 3
		.amdhsa_float_denorm_mode_16_64 3
		.amdhsa_dx10_clamp 1
		.amdhsa_ieee_mode 1
		.amdhsa_fp16_overflow 0
		.amdhsa_workgroup_processor_mode 1
		.amdhsa_memory_ordered 1
		.amdhsa_forward_progress 0
		.amdhsa_shared_vgpr_count 0
		.amdhsa_exception_fp_ieee_invalid_op 0
		.amdhsa_exception_fp_denorm_src 0
		.amdhsa_exception_fp_ieee_div_zero 0
		.amdhsa_exception_fp_ieee_overflow 0
		.amdhsa_exception_fp_ieee_underflow 0
		.amdhsa_exception_fp_ieee_inexact 0
		.amdhsa_exception_int_div_zero 0
	.end_amdhsa_kernel
	.section	.text._Z17shuffle_up_kernelILj2EiEvPT0_j,"axG",@progbits,_Z17shuffle_up_kernelILj2EiEvPT0_j,comdat
.Lfunc_end11:
	.size	_Z17shuffle_up_kernelILj2EiEvPT0_j, .Lfunc_end11-_Z17shuffle_up_kernelILj2EiEvPT0_j
                                        ; -- End function
	.section	.AMDGPU.csdata,"",@progbits
; Kernel info:
; codeLenInByte = 160
; NumSgprs: 18
; NumVgprs: 6
; ScratchSize: 0
; MemoryBound: 0
; FloatMode: 240
; IeeeMode: 1
; LDSByteSize: 0 bytes/workgroup (compile time only)
; SGPRBlocks: 2
; VGPRBlocks: 0
; NumSGPRsForWavesPerEU: 18
; NumVGPRsForWavesPerEU: 6
; Occupancy: 16
; WaveLimiterHint : 0
; COMPUTE_PGM_RSRC2:SCRATCH_EN: 0
; COMPUTE_PGM_RSRC2:USER_SGPR: 15
; COMPUTE_PGM_RSRC2:TRAP_HANDLER: 0
; COMPUTE_PGM_RSRC2:TGID_X_EN: 1
; COMPUTE_PGM_RSRC2:TGID_Y_EN: 0
; COMPUTE_PGM_RSRC2:TGID_Z_EN: 0
; COMPUTE_PGM_RSRC2:TIDIG_COMP_CNT: 0
	.section	.text._Z17shuffle_up_kernelILj4EiEvPT0_j,"axG",@progbits,_Z17shuffle_up_kernelILj4EiEvPT0_j,comdat
	.protected	_Z17shuffle_up_kernelILj4EiEvPT0_j ; -- Begin function _Z17shuffle_up_kernelILj4EiEvPT0_j
	.globl	_Z17shuffle_up_kernelILj4EiEvPT0_j
	.p2align	8
	.type	_Z17shuffle_up_kernelILj4EiEvPT0_j,@function
_Z17shuffle_up_kernelILj4EiEvPT0_j:     ; @_Z17shuffle_up_kernelILj4EiEvPT0_j
; %bb.0:
	s_clause 0x1
	s_load_b32 s4, s[0:1], 0x1c
	s_load_b64 s[2:3], s[0:1], 0x0
	v_mbcnt_lo_u32_b32 v3, -1, 0
	s_load_b32 s0, s[0:1], 0x8
	s_delay_alu instid0(VALU_DEP_1) | instskip(SKIP_2) | instid1(SALU_CYCLE_1)
	v_and_b32_e32 v5, 28, v3
	s_waitcnt lgkmcnt(0)
	s_and_b32 s4, s4, 0xffff
	v_mad_u64_u32 v[1:2], null, s15, s4, v[0:1]
	v_mov_b32_e32 v2, 0
	v_subrev_nc_u32_e32 v4, s0, v3
	s_delay_alu instid0(VALU_DEP_2) | instskip(NEXT) | instid1(VALU_DEP_1)
	v_lshlrev_b64 v[0:1], 2, v[1:2]
	v_add_co_u32 v0, vcc_lo, s2, v0
	s_delay_alu instid0(VALU_DEP_2) | instskip(NEXT) | instid1(VALU_DEP_4)
	v_add_co_ci_u32_e32 v1, vcc_lo, s3, v1, vcc_lo
	v_cmp_lt_i32_e32 vcc_lo, v4, v5
	global_load_b32 v2, v[0:1], off
	v_cndmask_b32_e32 v3, v4, v3, vcc_lo
	s_delay_alu instid0(VALU_DEP_1)
	v_lshlrev_b32_e32 v3, 2, v3
	s_waitcnt vmcnt(0)
	ds_bpermute_b32 v2, v3, v2
	s_waitcnt lgkmcnt(0)
	global_store_b32 v[0:1], v2, off
	s_nop 0
	s_sendmsg sendmsg(MSG_DEALLOC_VGPRS)
	s_endpgm
	.section	.rodata,"a",@progbits
	.p2align	6, 0x0
	.amdhsa_kernel _Z17shuffle_up_kernelILj4EiEvPT0_j
		.amdhsa_group_segment_fixed_size 0
		.amdhsa_private_segment_fixed_size 0
		.amdhsa_kernarg_size 272
		.amdhsa_user_sgpr_count 15
		.amdhsa_user_sgpr_dispatch_ptr 0
		.amdhsa_user_sgpr_queue_ptr 0
		.amdhsa_user_sgpr_kernarg_segment_ptr 1
		.amdhsa_user_sgpr_dispatch_id 0
		.amdhsa_user_sgpr_private_segment_size 0
		.amdhsa_wavefront_size32 1
		.amdhsa_uses_dynamic_stack 0
		.amdhsa_enable_private_segment 0
		.amdhsa_system_sgpr_workgroup_id_x 1
		.amdhsa_system_sgpr_workgroup_id_y 0
		.amdhsa_system_sgpr_workgroup_id_z 0
		.amdhsa_system_sgpr_workgroup_info 0
		.amdhsa_system_vgpr_workitem_id 0
		.amdhsa_next_free_vgpr 6
		.amdhsa_next_free_sgpr 16
		.amdhsa_reserve_vcc 1
		.amdhsa_float_round_mode_32 0
		.amdhsa_float_round_mode_16_64 0
		.amdhsa_float_denorm_mode_32 3
		.amdhsa_float_denorm_mode_16_64 3
		.amdhsa_dx10_clamp 1
		.amdhsa_ieee_mode 1
		.amdhsa_fp16_overflow 0
		.amdhsa_workgroup_processor_mode 1
		.amdhsa_memory_ordered 1
		.amdhsa_forward_progress 0
		.amdhsa_shared_vgpr_count 0
		.amdhsa_exception_fp_ieee_invalid_op 0
		.amdhsa_exception_fp_denorm_src 0
		.amdhsa_exception_fp_ieee_div_zero 0
		.amdhsa_exception_fp_ieee_overflow 0
		.amdhsa_exception_fp_ieee_underflow 0
		.amdhsa_exception_fp_ieee_inexact 0
		.amdhsa_exception_int_div_zero 0
	.end_amdhsa_kernel
	.section	.text._Z17shuffle_up_kernelILj4EiEvPT0_j,"axG",@progbits,_Z17shuffle_up_kernelILj4EiEvPT0_j,comdat
.Lfunc_end12:
	.size	_Z17shuffle_up_kernelILj4EiEvPT0_j, .Lfunc_end12-_Z17shuffle_up_kernelILj4EiEvPT0_j
                                        ; -- End function
	.section	.AMDGPU.csdata,"",@progbits
; Kernel info:
; codeLenInByte = 160
; NumSgprs: 18
; NumVgprs: 6
; ScratchSize: 0
; MemoryBound: 0
; FloatMode: 240
; IeeeMode: 1
; LDSByteSize: 0 bytes/workgroup (compile time only)
; SGPRBlocks: 2
; VGPRBlocks: 0
; NumSGPRsForWavesPerEU: 18
; NumVGPRsForWavesPerEU: 6
; Occupancy: 16
; WaveLimiterHint : 0
; COMPUTE_PGM_RSRC2:SCRATCH_EN: 0
; COMPUTE_PGM_RSRC2:USER_SGPR: 15
; COMPUTE_PGM_RSRC2:TRAP_HANDLER: 0
; COMPUTE_PGM_RSRC2:TGID_X_EN: 1
; COMPUTE_PGM_RSRC2:TGID_Y_EN: 0
; COMPUTE_PGM_RSRC2:TGID_Z_EN: 0
; COMPUTE_PGM_RSRC2:TIDIG_COMP_CNT: 0
	.section	.text._Z17shuffle_up_kernelILj8EiEvPT0_j,"axG",@progbits,_Z17shuffle_up_kernelILj8EiEvPT0_j,comdat
	.protected	_Z17shuffle_up_kernelILj8EiEvPT0_j ; -- Begin function _Z17shuffle_up_kernelILj8EiEvPT0_j
	.globl	_Z17shuffle_up_kernelILj8EiEvPT0_j
	.p2align	8
	.type	_Z17shuffle_up_kernelILj8EiEvPT0_j,@function
_Z17shuffle_up_kernelILj8EiEvPT0_j:     ; @_Z17shuffle_up_kernelILj8EiEvPT0_j
; %bb.0:
	s_clause 0x1
	s_load_b32 s4, s[0:1], 0x1c
	s_load_b64 s[2:3], s[0:1], 0x0
	v_mbcnt_lo_u32_b32 v3, -1, 0
	s_load_b32 s0, s[0:1], 0x8
	s_delay_alu instid0(VALU_DEP_1) | instskip(SKIP_2) | instid1(SALU_CYCLE_1)
	v_and_b32_e32 v5, 24, v3
	s_waitcnt lgkmcnt(0)
	s_and_b32 s4, s4, 0xffff
	v_mad_u64_u32 v[1:2], null, s15, s4, v[0:1]
	v_mov_b32_e32 v2, 0
	v_subrev_nc_u32_e32 v4, s0, v3
	s_delay_alu instid0(VALU_DEP_2) | instskip(NEXT) | instid1(VALU_DEP_1)
	v_lshlrev_b64 v[0:1], 2, v[1:2]
	v_add_co_u32 v0, vcc_lo, s2, v0
	s_delay_alu instid0(VALU_DEP_2) | instskip(NEXT) | instid1(VALU_DEP_4)
	v_add_co_ci_u32_e32 v1, vcc_lo, s3, v1, vcc_lo
	v_cmp_lt_i32_e32 vcc_lo, v4, v5
	global_load_b32 v2, v[0:1], off
	v_cndmask_b32_e32 v3, v4, v3, vcc_lo
	s_delay_alu instid0(VALU_DEP_1)
	v_lshlrev_b32_e32 v3, 2, v3
	s_waitcnt vmcnt(0)
	ds_bpermute_b32 v2, v3, v2
	s_waitcnt lgkmcnt(0)
	global_store_b32 v[0:1], v2, off
	s_nop 0
	s_sendmsg sendmsg(MSG_DEALLOC_VGPRS)
	s_endpgm
	.section	.rodata,"a",@progbits
	.p2align	6, 0x0
	.amdhsa_kernel _Z17shuffle_up_kernelILj8EiEvPT0_j
		.amdhsa_group_segment_fixed_size 0
		.amdhsa_private_segment_fixed_size 0
		.amdhsa_kernarg_size 272
		.amdhsa_user_sgpr_count 15
		.amdhsa_user_sgpr_dispatch_ptr 0
		.amdhsa_user_sgpr_queue_ptr 0
		.amdhsa_user_sgpr_kernarg_segment_ptr 1
		.amdhsa_user_sgpr_dispatch_id 0
		.amdhsa_user_sgpr_private_segment_size 0
		.amdhsa_wavefront_size32 1
		.amdhsa_uses_dynamic_stack 0
		.amdhsa_enable_private_segment 0
		.amdhsa_system_sgpr_workgroup_id_x 1
		.amdhsa_system_sgpr_workgroup_id_y 0
		.amdhsa_system_sgpr_workgroup_id_z 0
		.amdhsa_system_sgpr_workgroup_info 0
		.amdhsa_system_vgpr_workitem_id 0
		.amdhsa_next_free_vgpr 6
		.amdhsa_next_free_sgpr 16
		.amdhsa_reserve_vcc 1
		.amdhsa_float_round_mode_32 0
		.amdhsa_float_round_mode_16_64 0
		.amdhsa_float_denorm_mode_32 3
		.amdhsa_float_denorm_mode_16_64 3
		.amdhsa_dx10_clamp 1
		.amdhsa_ieee_mode 1
		.amdhsa_fp16_overflow 0
		.amdhsa_workgroup_processor_mode 1
		.amdhsa_memory_ordered 1
		.amdhsa_forward_progress 0
		.amdhsa_shared_vgpr_count 0
		.amdhsa_exception_fp_ieee_invalid_op 0
		.amdhsa_exception_fp_denorm_src 0
		.amdhsa_exception_fp_ieee_div_zero 0
		.amdhsa_exception_fp_ieee_overflow 0
		.amdhsa_exception_fp_ieee_underflow 0
		.amdhsa_exception_fp_ieee_inexact 0
		.amdhsa_exception_int_div_zero 0
	.end_amdhsa_kernel
	.section	.text._Z17shuffle_up_kernelILj8EiEvPT0_j,"axG",@progbits,_Z17shuffle_up_kernelILj8EiEvPT0_j,comdat
.Lfunc_end13:
	.size	_Z17shuffle_up_kernelILj8EiEvPT0_j, .Lfunc_end13-_Z17shuffle_up_kernelILj8EiEvPT0_j
                                        ; -- End function
	.section	.AMDGPU.csdata,"",@progbits
; Kernel info:
; codeLenInByte = 160
; NumSgprs: 18
; NumVgprs: 6
; ScratchSize: 0
; MemoryBound: 0
; FloatMode: 240
; IeeeMode: 1
; LDSByteSize: 0 bytes/workgroup (compile time only)
; SGPRBlocks: 2
; VGPRBlocks: 0
; NumSGPRsForWavesPerEU: 18
; NumVGPRsForWavesPerEU: 6
; Occupancy: 16
; WaveLimiterHint : 0
; COMPUTE_PGM_RSRC2:SCRATCH_EN: 0
; COMPUTE_PGM_RSRC2:USER_SGPR: 15
; COMPUTE_PGM_RSRC2:TRAP_HANDLER: 0
; COMPUTE_PGM_RSRC2:TGID_X_EN: 1
; COMPUTE_PGM_RSRC2:TGID_Y_EN: 0
; COMPUTE_PGM_RSRC2:TGID_Z_EN: 0
; COMPUTE_PGM_RSRC2:TIDIG_COMP_CNT: 0
	.section	.text._Z17shuffle_up_kernelILj16EiEvPT0_j,"axG",@progbits,_Z17shuffle_up_kernelILj16EiEvPT0_j,comdat
	.protected	_Z17shuffle_up_kernelILj16EiEvPT0_j ; -- Begin function _Z17shuffle_up_kernelILj16EiEvPT0_j
	.globl	_Z17shuffle_up_kernelILj16EiEvPT0_j
	.p2align	8
	.type	_Z17shuffle_up_kernelILj16EiEvPT0_j,@function
_Z17shuffle_up_kernelILj16EiEvPT0_j:    ; @_Z17shuffle_up_kernelILj16EiEvPT0_j
; %bb.0:
	s_clause 0x1
	s_load_b32 s4, s[0:1], 0x1c
	s_load_b64 s[2:3], s[0:1], 0x0
	v_mbcnt_lo_u32_b32 v3, -1, 0
	s_load_b32 s0, s[0:1], 0x8
	s_delay_alu instid0(VALU_DEP_1) | instskip(SKIP_2) | instid1(SALU_CYCLE_1)
	v_and_b32_e32 v5, 16, v3
	s_waitcnt lgkmcnt(0)
	s_and_b32 s4, s4, 0xffff
	v_mad_u64_u32 v[1:2], null, s15, s4, v[0:1]
	v_mov_b32_e32 v2, 0
	v_subrev_nc_u32_e32 v4, s0, v3
	s_delay_alu instid0(VALU_DEP_2) | instskip(NEXT) | instid1(VALU_DEP_1)
	v_lshlrev_b64 v[0:1], 2, v[1:2]
	v_add_co_u32 v0, vcc_lo, s2, v0
	s_delay_alu instid0(VALU_DEP_2) | instskip(NEXT) | instid1(VALU_DEP_4)
	v_add_co_ci_u32_e32 v1, vcc_lo, s3, v1, vcc_lo
	v_cmp_lt_i32_e32 vcc_lo, v4, v5
	global_load_b32 v2, v[0:1], off
	v_cndmask_b32_e32 v3, v4, v3, vcc_lo
	s_delay_alu instid0(VALU_DEP_1)
	v_lshlrev_b32_e32 v3, 2, v3
	s_waitcnt vmcnt(0)
	ds_bpermute_b32 v2, v3, v2
	s_waitcnt lgkmcnt(0)
	global_store_b32 v[0:1], v2, off
	s_nop 0
	s_sendmsg sendmsg(MSG_DEALLOC_VGPRS)
	s_endpgm
	.section	.rodata,"a",@progbits
	.p2align	6, 0x0
	.amdhsa_kernel _Z17shuffle_up_kernelILj16EiEvPT0_j
		.amdhsa_group_segment_fixed_size 0
		.amdhsa_private_segment_fixed_size 0
		.amdhsa_kernarg_size 272
		.amdhsa_user_sgpr_count 15
		.amdhsa_user_sgpr_dispatch_ptr 0
		.amdhsa_user_sgpr_queue_ptr 0
		.amdhsa_user_sgpr_kernarg_segment_ptr 1
		.amdhsa_user_sgpr_dispatch_id 0
		.amdhsa_user_sgpr_private_segment_size 0
		.amdhsa_wavefront_size32 1
		.amdhsa_uses_dynamic_stack 0
		.amdhsa_enable_private_segment 0
		.amdhsa_system_sgpr_workgroup_id_x 1
		.amdhsa_system_sgpr_workgroup_id_y 0
		.amdhsa_system_sgpr_workgroup_id_z 0
		.amdhsa_system_sgpr_workgroup_info 0
		.amdhsa_system_vgpr_workitem_id 0
		.amdhsa_next_free_vgpr 6
		.amdhsa_next_free_sgpr 16
		.amdhsa_reserve_vcc 1
		.amdhsa_float_round_mode_32 0
		.amdhsa_float_round_mode_16_64 0
		.amdhsa_float_denorm_mode_32 3
		.amdhsa_float_denorm_mode_16_64 3
		.amdhsa_dx10_clamp 1
		.amdhsa_ieee_mode 1
		.amdhsa_fp16_overflow 0
		.amdhsa_workgroup_processor_mode 1
		.amdhsa_memory_ordered 1
		.amdhsa_forward_progress 0
		.amdhsa_shared_vgpr_count 0
		.amdhsa_exception_fp_ieee_invalid_op 0
		.amdhsa_exception_fp_denorm_src 0
		.amdhsa_exception_fp_ieee_div_zero 0
		.amdhsa_exception_fp_ieee_overflow 0
		.amdhsa_exception_fp_ieee_underflow 0
		.amdhsa_exception_fp_ieee_inexact 0
		.amdhsa_exception_int_div_zero 0
	.end_amdhsa_kernel
	.section	.text._Z17shuffle_up_kernelILj16EiEvPT0_j,"axG",@progbits,_Z17shuffle_up_kernelILj16EiEvPT0_j,comdat
.Lfunc_end14:
	.size	_Z17shuffle_up_kernelILj16EiEvPT0_j, .Lfunc_end14-_Z17shuffle_up_kernelILj16EiEvPT0_j
                                        ; -- End function
	.section	.AMDGPU.csdata,"",@progbits
; Kernel info:
; codeLenInByte = 160
; NumSgprs: 18
; NumVgprs: 6
; ScratchSize: 0
; MemoryBound: 0
; FloatMode: 240
; IeeeMode: 1
; LDSByteSize: 0 bytes/workgroup (compile time only)
; SGPRBlocks: 2
; VGPRBlocks: 0
; NumSGPRsForWavesPerEU: 18
; NumVGPRsForWavesPerEU: 6
; Occupancy: 16
; WaveLimiterHint : 0
; COMPUTE_PGM_RSRC2:SCRATCH_EN: 0
; COMPUTE_PGM_RSRC2:USER_SGPR: 15
; COMPUTE_PGM_RSRC2:TRAP_HANDLER: 0
; COMPUTE_PGM_RSRC2:TGID_X_EN: 1
; COMPUTE_PGM_RSRC2:TGID_Y_EN: 0
; COMPUTE_PGM_RSRC2:TGID_Z_EN: 0
; COMPUTE_PGM_RSRC2:TIDIG_COMP_CNT: 0
	.section	.text._Z17shuffle_up_kernelILj32EiEvPT0_j,"axG",@progbits,_Z17shuffle_up_kernelILj32EiEvPT0_j,comdat
	.protected	_Z17shuffle_up_kernelILj32EiEvPT0_j ; -- Begin function _Z17shuffle_up_kernelILj32EiEvPT0_j
	.globl	_Z17shuffle_up_kernelILj32EiEvPT0_j
	.p2align	8
	.type	_Z17shuffle_up_kernelILj32EiEvPT0_j,@function
_Z17shuffle_up_kernelILj32EiEvPT0_j:    ; @_Z17shuffle_up_kernelILj32EiEvPT0_j
; %bb.0:
	s_clause 0x2
	s_load_b32 s4, s[0:1], 0x1c
	s_load_b64 s[2:3], s[0:1], 0x0
	s_load_b32 s0, s[0:1], 0x8
	v_mbcnt_lo_u32_b32 v3, -1, 0
	s_waitcnt lgkmcnt(0)
	s_and_b32 s4, s4, 0xffff
	s_delay_alu instid0(VALU_DEP_1) | instskip(SKIP_2) | instid1(VALU_DEP_1)
	v_subrev_nc_u32_e32 v4, s0, v3
	v_mad_u64_u32 v[1:2], null, s15, s4, v[0:1]
	v_mov_b32_e32 v2, 0
	v_lshlrev_b64 v[0:1], 2, v[1:2]
	s_delay_alu instid0(VALU_DEP_1) | instskip(NEXT) | instid1(VALU_DEP_2)
	v_add_co_u32 v0, vcc_lo, s2, v0
	v_add_co_ci_u32_e32 v1, vcc_lo, s3, v1, vcc_lo
	v_cmp_gt_i32_e32 vcc_lo, 0, v4
	global_load_b32 v2, v[0:1], off
	v_cndmask_b32_e32 v3, v4, v3, vcc_lo
	s_delay_alu instid0(VALU_DEP_1)
	v_lshlrev_b32_e32 v3, 2, v3
	s_waitcnt vmcnt(0)
	ds_bpermute_b32 v2, v3, v2
	s_waitcnt lgkmcnt(0)
	global_store_b32 v[0:1], v2, off
	s_nop 0
	s_sendmsg sendmsg(MSG_DEALLOC_VGPRS)
	s_endpgm
	.section	.rodata,"a",@progbits
	.p2align	6, 0x0
	.amdhsa_kernel _Z17shuffle_up_kernelILj32EiEvPT0_j
		.amdhsa_group_segment_fixed_size 0
		.amdhsa_private_segment_fixed_size 0
		.amdhsa_kernarg_size 272
		.amdhsa_user_sgpr_count 15
		.amdhsa_user_sgpr_dispatch_ptr 0
		.amdhsa_user_sgpr_queue_ptr 0
		.amdhsa_user_sgpr_kernarg_segment_ptr 1
		.amdhsa_user_sgpr_dispatch_id 0
		.amdhsa_user_sgpr_private_segment_size 0
		.amdhsa_wavefront_size32 1
		.amdhsa_uses_dynamic_stack 0
		.amdhsa_enable_private_segment 0
		.amdhsa_system_sgpr_workgroup_id_x 1
		.amdhsa_system_sgpr_workgroup_id_y 0
		.amdhsa_system_sgpr_workgroup_id_z 0
		.amdhsa_system_sgpr_workgroup_info 0
		.amdhsa_system_vgpr_workitem_id 0
		.amdhsa_next_free_vgpr 5
		.amdhsa_next_free_sgpr 16
		.amdhsa_reserve_vcc 1
		.amdhsa_float_round_mode_32 0
		.amdhsa_float_round_mode_16_64 0
		.amdhsa_float_denorm_mode_32 3
		.amdhsa_float_denorm_mode_16_64 3
		.amdhsa_dx10_clamp 1
		.amdhsa_ieee_mode 1
		.amdhsa_fp16_overflow 0
		.amdhsa_workgroup_processor_mode 1
		.amdhsa_memory_ordered 1
		.amdhsa_forward_progress 0
		.amdhsa_shared_vgpr_count 0
		.amdhsa_exception_fp_ieee_invalid_op 0
		.amdhsa_exception_fp_denorm_src 0
		.amdhsa_exception_fp_ieee_div_zero 0
		.amdhsa_exception_fp_ieee_overflow 0
		.amdhsa_exception_fp_ieee_underflow 0
		.amdhsa_exception_fp_ieee_inexact 0
		.amdhsa_exception_int_div_zero 0
	.end_amdhsa_kernel
	.section	.text._Z17shuffle_up_kernelILj32EiEvPT0_j,"axG",@progbits,_Z17shuffle_up_kernelILj32EiEvPT0_j,comdat
.Lfunc_end15:
	.size	_Z17shuffle_up_kernelILj32EiEvPT0_j, .Lfunc_end15-_Z17shuffle_up_kernelILj32EiEvPT0_j
                                        ; -- End function
	.section	.AMDGPU.csdata,"",@progbits
; Kernel info:
; codeLenInByte = 152
; NumSgprs: 18
; NumVgprs: 5
; ScratchSize: 0
; MemoryBound: 0
; FloatMode: 240
; IeeeMode: 1
; LDSByteSize: 0 bytes/workgroup (compile time only)
; SGPRBlocks: 2
; VGPRBlocks: 0
; NumSGPRsForWavesPerEU: 18
; NumVGPRsForWavesPerEU: 5
; Occupancy: 16
; WaveLimiterHint : 0
; COMPUTE_PGM_RSRC2:SCRATCH_EN: 0
; COMPUTE_PGM_RSRC2:USER_SGPR: 15
; COMPUTE_PGM_RSRC2:TRAP_HANDLER: 0
; COMPUTE_PGM_RSRC2:TGID_X_EN: 1
; COMPUTE_PGM_RSRC2:TGID_Y_EN: 0
; COMPUTE_PGM_RSRC2:TGID_Z_EN: 0
; COMPUTE_PGM_RSRC2:TIDIG_COMP_CNT: 0
	.section	.text._Z19shuffle_down_kernelILj64E12hip_bfloat16EvPT0_j,"axG",@progbits,_Z19shuffle_down_kernelILj64E12hip_bfloat16EvPT0_j,comdat
	.protected	_Z19shuffle_down_kernelILj64E12hip_bfloat16EvPT0_j ; -- Begin function _Z19shuffle_down_kernelILj64E12hip_bfloat16EvPT0_j
	.globl	_Z19shuffle_down_kernelILj64E12hip_bfloat16EvPT0_j
	.p2align	8
	.type	_Z19shuffle_down_kernelILj64E12hip_bfloat16EvPT0_j,@function
_Z19shuffle_down_kernelILj64E12hip_bfloat16EvPT0_j: ; @_Z19shuffle_down_kernelILj64E12hip_bfloat16EvPT0_j
; %bb.0:
	s_clause 0x2
	s_load_b32 s4, s[0:1], 0x1c
	s_load_b64 s[2:3], s[0:1], 0x0
	s_load_b32 s0, s[0:1], 0x8
	v_mbcnt_lo_u32_b32 v3, -1, 0
	s_waitcnt lgkmcnt(0)
	s_and_b32 s4, s4, 0xffff
	s_delay_alu instid0(VALU_DEP_1) | instskip(SKIP_2) | instid1(VALU_DEP_1)
	v_add_nc_u32_e32 v4, s0, v3
	v_mad_u64_u32 v[1:2], null, s15, s4, v[0:1]
	v_mov_b32_e32 v2, 0
	v_lshlrev_b64 v[0:1], 1, v[1:2]
	s_delay_alu instid0(VALU_DEP_1) | instskip(NEXT) | instid1(VALU_DEP_2)
	v_add_co_u32 v0, vcc_lo, s2, v0
	v_add_co_ci_u32_e32 v1, vcc_lo, s3, v1, vcc_lo
	v_cmp_gt_i32_e32 vcc_lo, 64, v4
	global_load_u16 v2, v[0:1], off
	v_cndmask_b32_e64 v4, 0, s0, vcc_lo
	s_delay_alu instid0(VALU_DEP_1)
	v_add_lshl_u32 v3, v4, v3, 2
	s_waitcnt vmcnt(0)
	ds_bpermute_b32 v2, v3, v2
	s_waitcnt lgkmcnt(0)
	global_store_b16 v[0:1], v2, off
	s_nop 0
	s_sendmsg sendmsg(MSG_DEALLOC_VGPRS)
	s_endpgm
	.section	.rodata,"a",@progbits
	.p2align	6, 0x0
	.amdhsa_kernel _Z19shuffle_down_kernelILj64E12hip_bfloat16EvPT0_j
		.amdhsa_group_segment_fixed_size 0
		.amdhsa_private_segment_fixed_size 0
		.amdhsa_kernarg_size 272
		.amdhsa_user_sgpr_count 15
		.amdhsa_user_sgpr_dispatch_ptr 0
		.amdhsa_user_sgpr_queue_ptr 0
		.amdhsa_user_sgpr_kernarg_segment_ptr 1
		.amdhsa_user_sgpr_dispatch_id 0
		.amdhsa_user_sgpr_private_segment_size 0
		.amdhsa_wavefront_size32 1
		.amdhsa_uses_dynamic_stack 0
		.amdhsa_enable_private_segment 0
		.amdhsa_system_sgpr_workgroup_id_x 1
		.amdhsa_system_sgpr_workgroup_id_y 0
		.amdhsa_system_sgpr_workgroup_id_z 0
		.amdhsa_system_sgpr_workgroup_info 0
		.amdhsa_system_vgpr_workitem_id 0
		.amdhsa_next_free_vgpr 5
		.amdhsa_next_free_sgpr 16
		.amdhsa_reserve_vcc 1
		.amdhsa_float_round_mode_32 0
		.amdhsa_float_round_mode_16_64 0
		.amdhsa_float_denorm_mode_32 3
		.amdhsa_float_denorm_mode_16_64 3
		.amdhsa_dx10_clamp 1
		.amdhsa_ieee_mode 1
		.amdhsa_fp16_overflow 0
		.amdhsa_workgroup_processor_mode 1
		.amdhsa_memory_ordered 1
		.amdhsa_forward_progress 0
		.amdhsa_shared_vgpr_count 0
		.amdhsa_exception_fp_ieee_invalid_op 0
		.amdhsa_exception_fp_denorm_src 0
		.amdhsa_exception_fp_ieee_div_zero 0
		.amdhsa_exception_fp_ieee_overflow 0
		.amdhsa_exception_fp_ieee_underflow 0
		.amdhsa_exception_fp_ieee_inexact 0
		.amdhsa_exception_int_div_zero 0
	.end_amdhsa_kernel
	.section	.text._Z19shuffle_down_kernelILj64E12hip_bfloat16EvPT0_j,"axG",@progbits,_Z19shuffle_down_kernelILj64E12hip_bfloat16EvPT0_j,comdat
.Lfunc_end16:
	.size	_Z19shuffle_down_kernelILj64E12hip_bfloat16EvPT0_j, .Lfunc_end16-_Z19shuffle_down_kernelILj64E12hip_bfloat16EvPT0_j
                                        ; -- End function
	.section	.AMDGPU.csdata,"",@progbits
; Kernel info:
; codeLenInByte = 160
; NumSgprs: 18
; NumVgprs: 5
; ScratchSize: 0
; MemoryBound: 0
; FloatMode: 240
; IeeeMode: 1
; LDSByteSize: 0 bytes/workgroup (compile time only)
; SGPRBlocks: 2
; VGPRBlocks: 0
; NumSGPRsForWavesPerEU: 18
; NumVGPRsForWavesPerEU: 5
; Occupancy: 16
; WaveLimiterHint : 0
; COMPUTE_PGM_RSRC2:SCRATCH_EN: 0
; COMPUTE_PGM_RSRC2:USER_SGPR: 15
; COMPUTE_PGM_RSRC2:TRAP_HANDLER: 0
; COMPUTE_PGM_RSRC2:TGID_X_EN: 1
; COMPUTE_PGM_RSRC2:TGID_Y_EN: 0
; COMPUTE_PGM_RSRC2:TGID_Z_EN: 0
; COMPUTE_PGM_RSRC2:TIDIG_COMP_CNT: 0
	.section	.text._Z19shuffle_down_kernelILj64E6__halfEvPT0_j,"axG",@progbits,_Z19shuffle_down_kernelILj64E6__halfEvPT0_j,comdat
	.protected	_Z19shuffle_down_kernelILj64E6__halfEvPT0_j ; -- Begin function _Z19shuffle_down_kernelILj64E6__halfEvPT0_j
	.globl	_Z19shuffle_down_kernelILj64E6__halfEvPT0_j
	.p2align	8
	.type	_Z19shuffle_down_kernelILj64E6__halfEvPT0_j,@function
_Z19shuffle_down_kernelILj64E6__halfEvPT0_j: ; @_Z19shuffle_down_kernelILj64E6__halfEvPT0_j
; %bb.0:
	s_clause 0x2
	s_load_b32 s4, s[0:1], 0x1c
	s_load_b64 s[2:3], s[0:1], 0x0
	s_load_b32 s0, s[0:1], 0x8
	v_mbcnt_lo_u32_b32 v3, -1, 0
	s_waitcnt lgkmcnt(0)
	s_and_b32 s4, s4, 0xffff
	s_delay_alu instid0(VALU_DEP_1) | instskip(SKIP_2) | instid1(VALU_DEP_1)
	v_add_nc_u32_e32 v4, s0, v3
	v_mad_u64_u32 v[1:2], null, s15, s4, v[0:1]
	v_mov_b32_e32 v2, 0
	v_lshlrev_b64 v[0:1], 1, v[1:2]
	s_delay_alu instid0(VALU_DEP_1) | instskip(NEXT) | instid1(VALU_DEP_2)
	v_add_co_u32 v0, vcc_lo, s2, v0
	v_add_co_ci_u32_e32 v1, vcc_lo, s3, v1, vcc_lo
	v_cmp_gt_i32_e32 vcc_lo, 64, v4
	global_load_u16 v2, v[0:1], off
	v_cndmask_b32_e64 v4, 0, s0, vcc_lo
	s_delay_alu instid0(VALU_DEP_1)
	v_add_lshl_u32 v3, v4, v3, 2
	s_waitcnt vmcnt(0)
	ds_bpermute_b32 v2, v3, v2
	s_waitcnt lgkmcnt(0)
	global_store_b16 v[0:1], v2, off
	s_nop 0
	s_sendmsg sendmsg(MSG_DEALLOC_VGPRS)
	s_endpgm
	.section	.rodata,"a",@progbits
	.p2align	6, 0x0
	.amdhsa_kernel _Z19shuffle_down_kernelILj64E6__halfEvPT0_j
		.amdhsa_group_segment_fixed_size 0
		.amdhsa_private_segment_fixed_size 0
		.amdhsa_kernarg_size 272
		.amdhsa_user_sgpr_count 15
		.amdhsa_user_sgpr_dispatch_ptr 0
		.amdhsa_user_sgpr_queue_ptr 0
		.amdhsa_user_sgpr_kernarg_segment_ptr 1
		.amdhsa_user_sgpr_dispatch_id 0
		.amdhsa_user_sgpr_private_segment_size 0
		.amdhsa_wavefront_size32 1
		.amdhsa_uses_dynamic_stack 0
		.amdhsa_enable_private_segment 0
		.amdhsa_system_sgpr_workgroup_id_x 1
		.amdhsa_system_sgpr_workgroup_id_y 0
		.amdhsa_system_sgpr_workgroup_id_z 0
		.amdhsa_system_sgpr_workgroup_info 0
		.amdhsa_system_vgpr_workitem_id 0
		.amdhsa_next_free_vgpr 5
		.amdhsa_next_free_sgpr 16
		.amdhsa_reserve_vcc 1
		.amdhsa_float_round_mode_32 0
		.amdhsa_float_round_mode_16_64 0
		.amdhsa_float_denorm_mode_32 3
		.amdhsa_float_denorm_mode_16_64 3
		.amdhsa_dx10_clamp 1
		.amdhsa_ieee_mode 1
		.amdhsa_fp16_overflow 0
		.amdhsa_workgroup_processor_mode 1
		.amdhsa_memory_ordered 1
		.amdhsa_forward_progress 0
		.amdhsa_shared_vgpr_count 0
		.amdhsa_exception_fp_ieee_invalid_op 0
		.amdhsa_exception_fp_denorm_src 0
		.amdhsa_exception_fp_ieee_div_zero 0
		.amdhsa_exception_fp_ieee_overflow 0
		.amdhsa_exception_fp_ieee_underflow 0
		.amdhsa_exception_fp_ieee_inexact 0
		.amdhsa_exception_int_div_zero 0
	.end_amdhsa_kernel
	.section	.text._Z19shuffle_down_kernelILj64E6__halfEvPT0_j,"axG",@progbits,_Z19shuffle_down_kernelILj64E6__halfEvPT0_j,comdat
.Lfunc_end17:
	.size	_Z19shuffle_down_kernelILj64E6__halfEvPT0_j, .Lfunc_end17-_Z19shuffle_down_kernelILj64E6__halfEvPT0_j
                                        ; -- End function
	.section	.AMDGPU.csdata,"",@progbits
; Kernel info:
; codeLenInByte = 160
; NumSgprs: 18
; NumVgprs: 5
; ScratchSize: 0
; MemoryBound: 0
; FloatMode: 240
; IeeeMode: 1
; LDSByteSize: 0 bytes/workgroup (compile time only)
; SGPRBlocks: 2
; VGPRBlocks: 0
; NumSGPRsForWavesPerEU: 18
; NumVGPRsForWavesPerEU: 5
; Occupancy: 16
; WaveLimiterHint : 0
; COMPUTE_PGM_RSRC2:SCRATCH_EN: 0
; COMPUTE_PGM_RSRC2:USER_SGPR: 15
; COMPUTE_PGM_RSRC2:TRAP_HANDLER: 0
; COMPUTE_PGM_RSRC2:TGID_X_EN: 1
; COMPUTE_PGM_RSRC2:TGID_Y_EN: 0
; COMPUTE_PGM_RSRC2:TGID_Z_EN: 0
; COMPUTE_PGM_RSRC2:TIDIG_COMP_CNT: 0
	.section	.text._Z19shuffle_down_kernelILj64EhEvPT0_j,"axG",@progbits,_Z19shuffle_down_kernelILj64EhEvPT0_j,comdat
	.protected	_Z19shuffle_down_kernelILj64EhEvPT0_j ; -- Begin function _Z19shuffle_down_kernelILj64EhEvPT0_j
	.globl	_Z19shuffle_down_kernelILj64EhEvPT0_j
	.p2align	8
	.type	_Z19shuffle_down_kernelILj64EhEvPT0_j,@function
_Z19shuffle_down_kernelILj64EhEvPT0_j:  ; @_Z19shuffle_down_kernelILj64EhEvPT0_j
; %bb.0:
	s_clause 0x2
	s_load_b32 s4, s[0:1], 0x1c
	s_load_b64 s[2:3], s[0:1], 0x0
	s_load_b32 s0, s[0:1], 0x8
	s_waitcnt lgkmcnt(0)
	s_and_b32 s4, s4, 0xffff
	s_delay_alu instid0(SALU_CYCLE_1) | instskip(SKIP_1) | instid1(VALU_DEP_1)
	v_mad_u64_u32 v[1:2], null, s15, s4, v[0:1]
	v_mbcnt_lo_u32_b32 v2, -1, 0
	v_add_nc_u32_e32 v3, s0, v2
	global_load_u8 v0, v1, s[2:3]
	v_cmp_gt_i32_e32 vcc_lo, 64, v3
	v_cndmask_b32_e64 v3, 0, s0, vcc_lo
	s_delay_alu instid0(VALU_DEP_1)
	v_add_lshl_u32 v2, v3, v2, 2
	s_waitcnt vmcnt(0)
	ds_bpermute_b32 v0, v2, v0
	s_waitcnt lgkmcnt(0)
	global_store_b8 v1, v0, s[2:3]
	s_nop 0
	s_sendmsg sendmsg(MSG_DEALLOC_VGPRS)
	s_endpgm
	.section	.rodata,"a",@progbits
	.p2align	6, 0x0
	.amdhsa_kernel _Z19shuffle_down_kernelILj64EhEvPT0_j
		.amdhsa_group_segment_fixed_size 0
		.amdhsa_private_segment_fixed_size 0
		.amdhsa_kernarg_size 272
		.amdhsa_user_sgpr_count 15
		.amdhsa_user_sgpr_dispatch_ptr 0
		.amdhsa_user_sgpr_queue_ptr 0
		.amdhsa_user_sgpr_kernarg_segment_ptr 1
		.amdhsa_user_sgpr_dispatch_id 0
		.amdhsa_user_sgpr_private_segment_size 0
		.amdhsa_wavefront_size32 1
		.amdhsa_uses_dynamic_stack 0
		.amdhsa_enable_private_segment 0
		.amdhsa_system_sgpr_workgroup_id_x 1
		.amdhsa_system_sgpr_workgroup_id_y 0
		.amdhsa_system_sgpr_workgroup_id_z 0
		.amdhsa_system_sgpr_workgroup_info 0
		.amdhsa_system_vgpr_workitem_id 0
		.amdhsa_next_free_vgpr 4
		.amdhsa_next_free_sgpr 16
		.amdhsa_reserve_vcc 1
		.amdhsa_float_round_mode_32 0
		.amdhsa_float_round_mode_16_64 0
		.amdhsa_float_denorm_mode_32 3
		.amdhsa_float_denorm_mode_16_64 3
		.amdhsa_dx10_clamp 1
		.amdhsa_ieee_mode 1
		.amdhsa_fp16_overflow 0
		.amdhsa_workgroup_processor_mode 1
		.amdhsa_memory_ordered 1
		.amdhsa_forward_progress 0
		.amdhsa_shared_vgpr_count 0
		.amdhsa_exception_fp_ieee_invalid_op 0
		.amdhsa_exception_fp_denorm_src 0
		.amdhsa_exception_fp_ieee_div_zero 0
		.amdhsa_exception_fp_ieee_overflow 0
		.amdhsa_exception_fp_ieee_underflow 0
		.amdhsa_exception_fp_ieee_inexact 0
		.amdhsa_exception_int_div_zero 0
	.end_amdhsa_kernel
	.section	.text._Z19shuffle_down_kernelILj64EhEvPT0_j,"axG",@progbits,_Z19shuffle_down_kernelILj64EhEvPT0_j,comdat
.Lfunc_end18:
	.size	_Z19shuffle_down_kernelILj64EhEvPT0_j, .Lfunc_end18-_Z19shuffle_down_kernelILj64EhEvPT0_j
                                        ; -- End function
	.section	.AMDGPU.csdata,"",@progbits
; Kernel info:
; codeLenInByte = 132
; NumSgprs: 18
; NumVgprs: 4
; ScratchSize: 0
; MemoryBound: 0
; FloatMode: 240
; IeeeMode: 1
; LDSByteSize: 0 bytes/workgroup (compile time only)
; SGPRBlocks: 2
; VGPRBlocks: 0
; NumSGPRsForWavesPerEU: 18
; NumVGPRsForWavesPerEU: 4
; Occupancy: 16
; WaveLimiterHint : 0
; COMPUTE_PGM_RSRC2:SCRATCH_EN: 0
; COMPUTE_PGM_RSRC2:USER_SGPR: 15
; COMPUTE_PGM_RSRC2:TRAP_HANDLER: 0
; COMPUTE_PGM_RSRC2:TGID_X_EN: 1
; COMPUTE_PGM_RSRC2:TGID_Y_EN: 0
; COMPUTE_PGM_RSRC2:TGID_Z_EN: 0
; COMPUTE_PGM_RSRC2:TIDIG_COMP_CNT: 0
	.section	.text._Z19shuffle_down_kernelILj64EdEvPT0_j,"axG",@progbits,_Z19shuffle_down_kernelILj64EdEvPT0_j,comdat
	.protected	_Z19shuffle_down_kernelILj64EdEvPT0_j ; -- Begin function _Z19shuffle_down_kernelILj64EdEvPT0_j
	.globl	_Z19shuffle_down_kernelILj64EdEvPT0_j
	.p2align	8
	.type	_Z19shuffle_down_kernelILj64EdEvPT0_j,@function
_Z19shuffle_down_kernelILj64EdEvPT0_j:  ; @_Z19shuffle_down_kernelILj64EdEvPT0_j
; %bb.0:
	s_clause 0x2
	s_load_b32 s4, s[0:1], 0x1c
	s_load_b64 s[2:3], s[0:1], 0x0
	s_load_b32 s0, s[0:1], 0x8
	v_mbcnt_lo_u32_b32 v4, -1, 0
	s_waitcnt lgkmcnt(0)
	s_and_b32 s4, s4, 0xffff
	s_delay_alu instid0(SALU_CYCLE_1) | instskip(NEXT) | instid1(VALU_DEP_2)
	v_mad_u64_u32 v[1:2], null, s15, s4, v[0:1]
	v_dual_mov_b32 v2, 0 :: v_dual_add_nc_u32 v5, s0, v4
	s_delay_alu instid0(VALU_DEP_1) | instskip(NEXT) | instid1(VALU_DEP_1)
	v_lshlrev_b64 v[0:1], 3, v[1:2]
	v_add_co_u32 v0, vcc_lo, s2, v0
	s_delay_alu instid0(VALU_DEP_2) | instskip(NEXT) | instid1(VALU_DEP_4)
	v_add_co_ci_u32_e32 v1, vcc_lo, s3, v1, vcc_lo
	v_cmp_gt_i32_e32 vcc_lo, 64, v5
	global_load_b64 v[2:3], v[0:1], off
	v_cndmask_b32_e64 v5, 0, s0, vcc_lo
	s_delay_alu instid0(VALU_DEP_1)
	v_add_lshl_u32 v4, v5, v4, 2
	s_waitcnt vmcnt(0)
	ds_bpermute_b32 v2, v4, v2
	ds_bpermute_b32 v3, v4, v3
	s_waitcnt lgkmcnt(0)
	global_store_b64 v[0:1], v[2:3], off
	s_nop 0
	s_sendmsg sendmsg(MSG_DEALLOC_VGPRS)
	s_endpgm
	.section	.rodata,"a",@progbits
	.p2align	6, 0x0
	.amdhsa_kernel _Z19shuffle_down_kernelILj64EdEvPT0_j
		.amdhsa_group_segment_fixed_size 0
		.amdhsa_private_segment_fixed_size 0
		.amdhsa_kernarg_size 272
		.amdhsa_user_sgpr_count 15
		.amdhsa_user_sgpr_dispatch_ptr 0
		.amdhsa_user_sgpr_queue_ptr 0
		.amdhsa_user_sgpr_kernarg_segment_ptr 1
		.amdhsa_user_sgpr_dispatch_id 0
		.amdhsa_user_sgpr_private_segment_size 0
		.amdhsa_wavefront_size32 1
		.amdhsa_uses_dynamic_stack 0
		.amdhsa_enable_private_segment 0
		.amdhsa_system_sgpr_workgroup_id_x 1
		.amdhsa_system_sgpr_workgroup_id_y 0
		.amdhsa_system_sgpr_workgroup_id_z 0
		.amdhsa_system_sgpr_workgroup_info 0
		.amdhsa_system_vgpr_workitem_id 0
		.amdhsa_next_free_vgpr 6
		.amdhsa_next_free_sgpr 16
		.amdhsa_reserve_vcc 1
		.amdhsa_float_round_mode_32 0
		.amdhsa_float_round_mode_16_64 0
		.amdhsa_float_denorm_mode_32 3
		.amdhsa_float_denorm_mode_16_64 3
		.amdhsa_dx10_clamp 1
		.amdhsa_ieee_mode 1
		.amdhsa_fp16_overflow 0
		.amdhsa_workgroup_processor_mode 1
		.amdhsa_memory_ordered 1
		.amdhsa_forward_progress 0
		.amdhsa_shared_vgpr_count 0
		.amdhsa_exception_fp_ieee_invalid_op 0
		.amdhsa_exception_fp_denorm_src 0
		.amdhsa_exception_fp_ieee_div_zero 0
		.amdhsa_exception_fp_ieee_overflow 0
		.amdhsa_exception_fp_ieee_underflow 0
		.amdhsa_exception_fp_ieee_inexact 0
		.amdhsa_exception_int_div_zero 0
	.end_amdhsa_kernel
	.section	.text._Z19shuffle_down_kernelILj64EdEvPT0_j,"axG",@progbits,_Z19shuffle_down_kernelILj64EdEvPT0_j,comdat
.Lfunc_end19:
	.size	_Z19shuffle_down_kernelILj64EdEvPT0_j, .Lfunc_end19-_Z19shuffle_down_kernelILj64EdEvPT0_j
                                        ; -- End function
	.section	.AMDGPU.csdata,"",@progbits
; Kernel info:
; codeLenInByte = 172
; NumSgprs: 18
; NumVgprs: 6
; ScratchSize: 0
; MemoryBound: 0
; FloatMode: 240
; IeeeMode: 1
; LDSByteSize: 0 bytes/workgroup (compile time only)
; SGPRBlocks: 2
; VGPRBlocks: 0
; NumSGPRsForWavesPerEU: 18
; NumVGPRsForWavesPerEU: 6
; Occupancy: 16
; WaveLimiterHint : 0
; COMPUTE_PGM_RSRC2:SCRATCH_EN: 0
; COMPUTE_PGM_RSRC2:USER_SGPR: 15
; COMPUTE_PGM_RSRC2:TRAP_HANDLER: 0
; COMPUTE_PGM_RSRC2:TGID_X_EN: 1
; COMPUTE_PGM_RSRC2:TGID_Y_EN: 0
; COMPUTE_PGM_RSRC2:TGID_Z_EN: 0
; COMPUTE_PGM_RSRC2:TIDIG_COMP_CNT: 0
	.section	.text._Z19shuffle_down_kernelILj64EfEvPT0_j,"axG",@progbits,_Z19shuffle_down_kernelILj64EfEvPT0_j,comdat
	.protected	_Z19shuffle_down_kernelILj64EfEvPT0_j ; -- Begin function _Z19shuffle_down_kernelILj64EfEvPT0_j
	.globl	_Z19shuffle_down_kernelILj64EfEvPT0_j
	.p2align	8
	.type	_Z19shuffle_down_kernelILj64EfEvPT0_j,@function
_Z19shuffle_down_kernelILj64EfEvPT0_j:  ; @_Z19shuffle_down_kernelILj64EfEvPT0_j
; %bb.0:
	s_clause 0x2
	s_load_b32 s4, s[0:1], 0x1c
	s_load_b64 s[2:3], s[0:1], 0x0
	s_load_b32 s0, s[0:1], 0x8
	v_mbcnt_lo_u32_b32 v3, -1, 0
	s_waitcnt lgkmcnt(0)
	s_and_b32 s4, s4, 0xffff
	s_delay_alu instid0(VALU_DEP_1) | instskip(SKIP_2) | instid1(VALU_DEP_1)
	v_add_nc_u32_e32 v4, s0, v3
	v_mad_u64_u32 v[1:2], null, s15, s4, v[0:1]
	v_mov_b32_e32 v2, 0
	v_lshlrev_b64 v[0:1], 2, v[1:2]
	s_delay_alu instid0(VALU_DEP_1) | instskip(NEXT) | instid1(VALU_DEP_2)
	v_add_co_u32 v0, vcc_lo, s2, v0
	v_add_co_ci_u32_e32 v1, vcc_lo, s3, v1, vcc_lo
	v_cmp_gt_i32_e32 vcc_lo, 64, v4
	global_load_b32 v2, v[0:1], off
	v_cndmask_b32_e64 v4, 0, s0, vcc_lo
	s_delay_alu instid0(VALU_DEP_1)
	v_add_lshl_u32 v3, v4, v3, 2
	s_waitcnt vmcnt(0)
	ds_bpermute_b32 v2, v3, v2
	s_waitcnt lgkmcnt(0)
	global_store_b32 v[0:1], v2, off
	s_nop 0
	s_sendmsg sendmsg(MSG_DEALLOC_VGPRS)
	s_endpgm
	.section	.rodata,"a",@progbits
	.p2align	6, 0x0
	.amdhsa_kernel _Z19shuffle_down_kernelILj64EfEvPT0_j
		.amdhsa_group_segment_fixed_size 0
		.amdhsa_private_segment_fixed_size 0
		.amdhsa_kernarg_size 272
		.amdhsa_user_sgpr_count 15
		.amdhsa_user_sgpr_dispatch_ptr 0
		.amdhsa_user_sgpr_queue_ptr 0
		.amdhsa_user_sgpr_kernarg_segment_ptr 1
		.amdhsa_user_sgpr_dispatch_id 0
		.amdhsa_user_sgpr_private_segment_size 0
		.amdhsa_wavefront_size32 1
		.amdhsa_uses_dynamic_stack 0
		.amdhsa_enable_private_segment 0
		.amdhsa_system_sgpr_workgroup_id_x 1
		.amdhsa_system_sgpr_workgroup_id_y 0
		.amdhsa_system_sgpr_workgroup_id_z 0
		.amdhsa_system_sgpr_workgroup_info 0
		.amdhsa_system_vgpr_workitem_id 0
		.amdhsa_next_free_vgpr 5
		.amdhsa_next_free_sgpr 16
		.amdhsa_reserve_vcc 1
		.amdhsa_float_round_mode_32 0
		.amdhsa_float_round_mode_16_64 0
		.amdhsa_float_denorm_mode_32 3
		.amdhsa_float_denorm_mode_16_64 3
		.amdhsa_dx10_clamp 1
		.amdhsa_ieee_mode 1
		.amdhsa_fp16_overflow 0
		.amdhsa_workgroup_processor_mode 1
		.amdhsa_memory_ordered 1
		.amdhsa_forward_progress 0
		.amdhsa_shared_vgpr_count 0
		.amdhsa_exception_fp_ieee_invalid_op 0
		.amdhsa_exception_fp_denorm_src 0
		.amdhsa_exception_fp_ieee_div_zero 0
		.amdhsa_exception_fp_ieee_overflow 0
		.amdhsa_exception_fp_ieee_underflow 0
		.amdhsa_exception_fp_ieee_inexact 0
		.amdhsa_exception_int_div_zero 0
	.end_amdhsa_kernel
	.section	.text._Z19shuffle_down_kernelILj64EfEvPT0_j,"axG",@progbits,_Z19shuffle_down_kernelILj64EfEvPT0_j,comdat
.Lfunc_end20:
	.size	_Z19shuffle_down_kernelILj64EfEvPT0_j, .Lfunc_end20-_Z19shuffle_down_kernelILj64EfEvPT0_j
                                        ; -- End function
	.section	.AMDGPU.csdata,"",@progbits
; Kernel info:
; codeLenInByte = 160
; NumSgprs: 18
; NumVgprs: 5
; ScratchSize: 0
; MemoryBound: 0
; FloatMode: 240
; IeeeMode: 1
; LDSByteSize: 0 bytes/workgroup (compile time only)
; SGPRBlocks: 2
; VGPRBlocks: 0
; NumSGPRsForWavesPerEU: 18
; NumVGPRsForWavesPerEU: 5
; Occupancy: 16
; WaveLimiterHint : 0
; COMPUTE_PGM_RSRC2:SCRATCH_EN: 0
; COMPUTE_PGM_RSRC2:USER_SGPR: 15
; COMPUTE_PGM_RSRC2:TRAP_HANDLER: 0
; COMPUTE_PGM_RSRC2:TGID_X_EN: 1
; COMPUTE_PGM_RSRC2:TGID_Y_EN: 0
; COMPUTE_PGM_RSRC2:TGID_Z_EN: 0
; COMPUTE_PGM_RSRC2:TIDIG_COMP_CNT: 0
	.section	.text._Z19shuffle_down_kernelILj32EhEvPT0_j,"axG",@progbits,_Z19shuffle_down_kernelILj32EhEvPT0_j,comdat
	.protected	_Z19shuffle_down_kernelILj32EhEvPT0_j ; -- Begin function _Z19shuffle_down_kernelILj32EhEvPT0_j
	.globl	_Z19shuffle_down_kernelILj32EhEvPT0_j
	.p2align	8
	.type	_Z19shuffle_down_kernelILj32EhEvPT0_j,@function
_Z19shuffle_down_kernelILj32EhEvPT0_j:  ; @_Z19shuffle_down_kernelILj32EhEvPT0_j
; %bb.0:
	s_clause 0x2
	s_load_b32 s4, s[0:1], 0x1c
	s_load_b64 s[2:3], s[0:1], 0x0
	s_load_b32 s0, s[0:1], 0x8
	s_waitcnt lgkmcnt(0)
	s_and_b32 s4, s4, 0xffff
	s_delay_alu instid0(SALU_CYCLE_1) | instskip(SKIP_1) | instid1(VALU_DEP_1)
	v_mad_u64_u32 v[1:2], null, s15, s4, v[0:1]
	v_mbcnt_lo_u32_b32 v2, -1, 0
	v_add_nc_u32_e32 v3, s0, v2
	global_load_u8 v0, v1, s[2:3]
	v_cmp_gt_i32_e32 vcc_lo, 32, v3
	v_cndmask_b32_e64 v3, 0, s0, vcc_lo
	s_delay_alu instid0(VALU_DEP_1)
	v_add_lshl_u32 v2, v3, v2, 2
	s_waitcnt vmcnt(0)
	ds_bpermute_b32 v0, v2, v0
	s_waitcnt lgkmcnt(0)
	global_store_b8 v1, v0, s[2:3]
	s_nop 0
	s_sendmsg sendmsg(MSG_DEALLOC_VGPRS)
	s_endpgm
	.section	.rodata,"a",@progbits
	.p2align	6, 0x0
	.amdhsa_kernel _Z19shuffle_down_kernelILj32EhEvPT0_j
		.amdhsa_group_segment_fixed_size 0
		.amdhsa_private_segment_fixed_size 0
		.amdhsa_kernarg_size 272
		.amdhsa_user_sgpr_count 15
		.amdhsa_user_sgpr_dispatch_ptr 0
		.amdhsa_user_sgpr_queue_ptr 0
		.amdhsa_user_sgpr_kernarg_segment_ptr 1
		.amdhsa_user_sgpr_dispatch_id 0
		.amdhsa_user_sgpr_private_segment_size 0
		.amdhsa_wavefront_size32 1
		.amdhsa_uses_dynamic_stack 0
		.amdhsa_enable_private_segment 0
		.amdhsa_system_sgpr_workgroup_id_x 1
		.amdhsa_system_sgpr_workgroup_id_y 0
		.amdhsa_system_sgpr_workgroup_id_z 0
		.amdhsa_system_sgpr_workgroup_info 0
		.amdhsa_system_vgpr_workitem_id 0
		.amdhsa_next_free_vgpr 4
		.amdhsa_next_free_sgpr 16
		.amdhsa_reserve_vcc 1
		.amdhsa_float_round_mode_32 0
		.amdhsa_float_round_mode_16_64 0
		.amdhsa_float_denorm_mode_32 3
		.amdhsa_float_denorm_mode_16_64 3
		.amdhsa_dx10_clamp 1
		.amdhsa_ieee_mode 1
		.amdhsa_fp16_overflow 0
		.amdhsa_workgroup_processor_mode 1
		.amdhsa_memory_ordered 1
		.amdhsa_forward_progress 0
		.amdhsa_shared_vgpr_count 0
		.amdhsa_exception_fp_ieee_invalid_op 0
		.amdhsa_exception_fp_denorm_src 0
		.amdhsa_exception_fp_ieee_div_zero 0
		.amdhsa_exception_fp_ieee_overflow 0
		.amdhsa_exception_fp_ieee_underflow 0
		.amdhsa_exception_fp_ieee_inexact 0
		.amdhsa_exception_int_div_zero 0
	.end_amdhsa_kernel
	.section	.text._Z19shuffle_down_kernelILj32EhEvPT0_j,"axG",@progbits,_Z19shuffle_down_kernelILj32EhEvPT0_j,comdat
.Lfunc_end21:
	.size	_Z19shuffle_down_kernelILj32EhEvPT0_j, .Lfunc_end21-_Z19shuffle_down_kernelILj32EhEvPT0_j
                                        ; -- End function
	.section	.AMDGPU.csdata,"",@progbits
; Kernel info:
; codeLenInByte = 132
; NumSgprs: 18
; NumVgprs: 4
; ScratchSize: 0
; MemoryBound: 0
; FloatMode: 240
; IeeeMode: 1
; LDSByteSize: 0 bytes/workgroup (compile time only)
; SGPRBlocks: 2
; VGPRBlocks: 0
; NumSGPRsForWavesPerEU: 18
; NumVGPRsForWavesPerEU: 4
; Occupancy: 16
; WaveLimiterHint : 0
; COMPUTE_PGM_RSRC2:SCRATCH_EN: 0
; COMPUTE_PGM_RSRC2:USER_SGPR: 15
; COMPUTE_PGM_RSRC2:TRAP_HANDLER: 0
; COMPUTE_PGM_RSRC2:TGID_X_EN: 1
; COMPUTE_PGM_RSRC2:TGID_Y_EN: 0
; COMPUTE_PGM_RSRC2:TGID_Z_EN: 0
; COMPUTE_PGM_RSRC2:TIDIG_COMP_CNT: 0
	.section	.text._Z19shuffle_down_kernelILj32E12hip_bfloat16EvPT0_j,"axG",@progbits,_Z19shuffle_down_kernelILj32E12hip_bfloat16EvPT0_j,comdat
	.protected	_Z19shuffle_down_kernelILj32E12hip_bfloat16EvPT0_j ; -- Begin function _Z19shuffle_down_kernelILj32E12hip_bfloat16EvPT0_j
	.globl	_Z19shuffle_down_kernelILj32E12hip_bfloat16EvPT0_j
	.p2align	8
	.type	_Z19shuffle_down_kernelILj32E12hip_bfloat16EvPT0_j,@function
_Z19shuffle_down_kernelILj32E12hip_bfloat16EvPT0_j: ; @_Z19shuffle_down_kernelILj32E12hip_bfloat16EvPT0_j
; %bb.0:
	s_clause 0x2
	s_load_b32 s4, s[0:1], 0x1c
	s_load_b64 s[2:3], s[0:1], 0x0
	s_load_b32 s0, s[0:1], 0x8
	v_mbcnt_lo_u32_b32 v3, -1, 0
	s_waitcnt lgkmcnt(0)
	s_and_b32 s4, s4, 0xffff
	s_delay_alu instid0(VALU_DEP_1) | instskip(SKIP_2) | instid1(VALU_DEP_1)
	v_add_nc_u32_e32 v4, s0, v3
	v_mad_u64_u32 v[1:2], null, s15, s4, v[0:1]
	v_mov_b32_e32 v2, 0
	v_lshlrev_b64 v[0:1], 1, v[1:2]
	s_delay_alu instid0(VALU_DEP_1) | instskip(NEXT) | instid1(VALU_DEP_2)
	v_add_co_u32 v0, vcc_lo, s2, v0
	v_add_co_ci_u32_e32 v1, vcc_lo, s3, v1, vcc_lo
	v_cmp_gt_i32_e32 vcc_lo, 32, v4
	global_load_u16 v2, v[0:1], off
	v_cndmask_b32_e64 v4, 0, s0, vcc_lo
	s_delay_alu instid0(VALU_DEP_1)
	v_add_lshl_u32 v3, v4, v3, 2
	s_waitcnt vmcnt(0)
	ds_bpermute_b32 v2, v3, v2
	s_waitcnt lgkmcnt(0)
	global_store_b16 v[0:1], v2, off
	s_nop 0
	s_sendmsg sendmsg(MSG_DEALLOC_VGPRS)
	s_endpgm
	.section	.rodata,"a",@progbits
	.p2align	6, 0x0
	.amdhsa_kernel _Z19shuffle_down_kernelILj32E12hip_bfloat16EvPT0_j
		.amdhsa_group_segment_fixed_size 0
		.amdhsa_private_segment_fixed_size 0
		.amdhsa_kernarg_size 272
		.amdhsa_user_sgpr_count 15
		.amdhsa_user_sgpr_dispatch_ptr 0
		.amdhsa_user_sgpr_queue_ptr 0
		.amdhsa_user_sgpr_kernarg_segment_ptr 1
		.amdhsa_user_sgpr_dispatch_id 0
		.amdhsa_user_sgpr_private_segment_size 0
		.amdhsa_wavefront_size32 1
		.amdhsa_uses_dynamic_stack 0
		.amdhsa_enable_private_segment 0
		.amdhsa_system_sgpr_workgroup_id_x 1
		.amdhsa_system_sgpr_workgroup_id_y 0
		.amdhsa_system_sgpr_workgroup_id_z 0
		.amdhsa_system_sgpr_workgroup_info 0
		.amdhsa_system_vgpr_workitem_id 0
		.amdhsa_next_free_vgpr 5
		.amdhsa_next_free_sgpr 16
		.amdhsa_reserve_vcc 1
		.amdhsa_float_round_mode_32 0
		.amdhsa_float_round_mode_16_64 0
		.amdhsa_float_denorm_mode_32 3
		.amdhsa_float_denorm_mode_16_64 3
		.amdhsa_dx10_clamp 1
		.amdhsa_ieee_mode 1
		.amdhsa_fp16_overflow 0
		.amdhsa_workgroup_processor_mode 1
		.amdhsa_memory_ordered 1
		.amdhsa_forward_progress 0
		.amdhsa_shared_vgpr_count 0
		.amdhsa_exception_fp_ieee_invalid_op 0
		.amdhsa_exception_fp_denorm_src 0
		.amdhsa_exception_fp_ieee_div_zero 0
		.amdhsa_exception_fp_ieee_overflow 0
		.amdhsa_exception_fp_ieee_underflow 0
		.amdhsa_exception_fp_ieee_inexact 0
		.amdhsa_exception_int_div_zero 0
	.end_amdhsa_kernel
	.section	.text._Z19shuffle_down_kernelILj32E12hip_bfloat16EvPT0_j,"axG",@progbits,_Z19shuffle_down_kernelILj32E12hip_bfloat16EvPT0_j,comdat
.Lfunc_end22:
	.size	_Z19shuffle_down_kernelILj32E12hip_bfloat16EvPT0_j, .Lfunc_end22-_Z19shuffle_down_kernelILj32E12hip_bfloat16EvPT0_j
                                        ; -- End function
	.section	.AMDGPU.csdata,"",@progbits
; Kernel info:
; codeLenInByte = 160
; NumSgprs: 18
; NumVgprs: 5
; ScratchSize: 0
; MemoryBound: 0
; FloatMode: 240
; IeeeMode: 1
; LDSByteSize: 0 bytes/workgroup (compile time only)
; SGPRBlocks: 2
; VGPRBlocks: 0
; NumSGPRsForWavesPerEU: 18
; NumVGPRsForWavesPerEU: 5
; Occupancy: 16
; WaveLimiterHint : 0
; COMPUTE_PGM_RSRC2:SCRATCH_EN: 0
; COMPUTE_PGM_RSRC2:USER_SGPR: 15
; COMPUTE_PGM_RSRC2:TRAP_HANDLER: 0
; COMPUTE_PGM_RSRC2:TGID_X_EN: 1
; COMPUTE_PGM_RSRC2:TGID_Y_EN: 0
; COMPUTE_PGM_RSRC2:TGID_Z_EN: 0
; COMPUTE_PGM_RSRC2:TIDIG_COMP_CNT: 0
	.section	.text._Z19shuffle_down_kernelILj32E6__halfEvPT0_j,"axG",@progbits,_Z19shuffle_down_kernelILj32E6__halfEvPT0_j,comdat
	.protected	_Z19shuffle_down_kernelILj32E6__halfEvPT0_j ; -- Begin function _Z19shuffle_down_kernelILj32E6__halfEvPT0_j
	.globl	_Z19shuffle_down_kernelILj32E6__halfEvPT0_j
	.p2align	8
	.type	_Z19shuffle_down_kernelILj32E6__halfEvPT0_j,@function
_Z19shuffle_down_kernelILj32E6__halfEvPT0_j: ; @_Z19shuffle_down_kernelILj32E6__halfEvPT0_j
; %bb.0:
	s_clause 0x2
	s_load_b32 s4, s[0:1], 0x1c
	s_load_b64 s[2:3], s[0:1], 0x0
	s_load_b32 s0, s[0:1], 0x8
	v_mbcnt_lo_u32_b32 v3, -1, 0
	s_waitcnt lgkmcnt(0)
	s_and_b32 s4, s4, 0xffff
	s_delay_alu instid0(VALU_DEP_1) | instskip(SKIP_2) | instid1(VALU_DEP_1)
	v_add_nc_u32_e32 v4, s0, v3
	v_mad_u64_u32 v[1:2], null, s15, s4, v[0:1]
	v_mov_b32_e32 v2, 0
	v_lshlrev_b64 v[0:1], 1, v[1:2]
	s_delay_alu instid0(VALU_DEP_1) | instskip(NEXT) | instid1(VALU_DEP_2)
	v_add_co_u32 v0, vcc_lo, s2, v0
	v_add_co_ci_u32_e32 v1, vcc_lo, s3, v1, vcc_lo
	v_cmp_gt_i32_e32 vcc_lo, 32, v4
	global_load_u16 v2, v[0:1], off
	v_cndmask_b32_e64 v4, 0, s0, vcc_lo
	s_delay_alu instid0(VALU_DEP_1)
	v_add_lshl_u32 v3, v4, v3, 2
	s_waitcnt vmcnt(0)
	ds_bpermute_b32 v2, v3, v2
	s_waitcnt lgkmcnt(0)
	global_store_b16 v[0:1], v2, off
	s_nop 0
	s_sendmsg sendmsg(MSG_DEALLOC_VGPRS)
	s_endpgm
	.section	.rodata,"a",@progbits
	.p2align	6, 0x0
	.amdhsa_kernel _Z19shuffle_down_kernelILj32E6__halfEvPT0_j
		.amdhsa_group_segment_fixed_size 0
		.amdhsa_private_segment_fixed_size 0
		.amdhsa_kernarg_size 272
		.amdhsa_user_sgpr_count 15
		.amdhsa_user_sgpr_dispatch_ptr 0
		.amdhsa_user_sgpr_queue_ptr 0
		.amdhsa_user_sgpr_kernarg_segment_ptr 1
		.amdhsa_user_sgpr_dispatch_id 0
		.amdhsa_user_sgpr_private_segment_size 0
		.amdhsa_wavefront_size32 1
		.amdhsa_uses_dynamic_stack 0
		.amdhsa_enable_private_segment 0
		.amdhsa_system_sgpr_workgroup_id_x 1
		.amdhsa_system_sgpr_workgroup_id_y 0
		.amdhsa_system_sgpr_workgroup_id_z 0
		.amdhsa_system_sgpr_workgroup_info 0
		.amdhsa_system_vgpr_workitem_id 0
		.amdhsa_next_free_vgpr 5
		.amdhsa_next_free_sgpr 16
		.amdhsa_reserve_vcc 1
		.amdhsa_float_round_mode_32 0
		.amdhsa_float_round_mode_16_64 0
		.amdhsa_float_denorm_mode_32 3
		.amdhsa_float_denorm_mode_16_64 3
		.amdhsa_dx10_clamp 1
		.amdhsa_ieee_mode 1
		.amdhsa_fp16_overflow 0
		.amdhsa_workgroup_processor_mode 1
		.amdhsa_memory_ordered 1
		.amdhsa_forward_progress 0
		.amdhsa_shared_vgpr_count 0
		.amdhsa_exception_fp_ieee_invalid_op 0
		.amdhsa_exception_fp_denorm_src 0
		.amdhsa_exception_fp_ieee_div_zero 0
		.amdhsa_exception_fp_ieee_overflow 0
		.amdhsa_exception_fp_ieee_underflow 0
		.amdhsa_exception_fp_ieee_inexact 0
		.amdhsa_exception_int_div_zero 0
	.end_amdhsa_kernel
	.section	.text._Z19shuffle_down_kernelILj32E6__halfEvPT0_j,"axG",@progbits,_Z19shuffle_down_kernelILj32E6__halfEvPT0_j,comdat
.Lfunc_end23:
	.size	_Z19shuffle_down_kernelILj32E6__halfEvPT0_j, .Lfunc_end23-_Z19shuffle_down_kernelILj32E6__halfEvPT0_j
                                        ; -- End function
	.section	.AMDGPU.csdata,"",@progbits
; Kernel info:
; codeLenInByte = 160
; NumSgprs: 18
; NumVgprs: 5
; ScratchSize: 0
; MemoryBound: 0
; FloatMode: 240
; IeeeMode: 1
; LDSByteSize: 0 bytes/workgroup (compile time only)
; SGPRBlocks: 2
; VGPRBlocks: 0
; NumSGPRsForWavesPerEU: 18
; NumVGPRsForWavesPerEU: 5
; Occupancy: 16
; WaveLimiterHint : 0
; COMPUTE_PGM_RSRC2:SCRATCH_EN: 0
; COMPUTE_PGM_RSRC2:USER_SGPR: 15
; COMPUTE_PGM_RSRC2:TRAP_HANDLER: 0
; COMPUTE_PGM_RSRC2:TGID_X_EN: 1
; COMPUTE_PGM_RSRC2:TGID_Y_EN: 0
; COMPUTE_PGM_RSRC2:TGID_Z_EN: 0
; COMPUTE_PGM_RSRC2:TIDIG_COMP_CNT: 0
	.section	.text._Z19shuffle_down_kernelILj32EdEvPT0_j,"axG",@progbits,_Z19shuffle_down_kernelILj32EdEvPT0_j,comdat
	.protected	_Z19shuffle_down_kernelILj32EdEvPT0_j ; -- Begin function _Z19shuffle_down_kernelILj32EdEvPT0_j
	.globl	_Z19shuffle_down_kernelILj32EdEvPT0_j
	.p2align	8
	.type	_Z19shuffle_down_kernelILj32EdEvPT0_j,@function
_Z19shuffle_down_kernelILj32EdEvPT0_j:  ; @_Z19shuffle_down_kernelILj32EdEvPT0_j
; %bb.0:
	s_clause 0x2
	s_load_b32 s4, s[0:1], 0x1c
	s_load_b64 s[2:3], s[0:1], 0x0
	s_load_b32 s0, s[0:1], 0x8
	v_mbcnt_lo_u32_b32 v4, -1, 0
	s_waitcnt lgkmcnt(0)
	s_and_b32 s4, s4, 0xffff
	s_delay_alu instid0(SALU_CYCLE_1) | instskip(NEXT) | instid1(VALU_DEP_2)
	v_mad_u64_u32 v[1:2], null, s15, s4, v[0:1]
	v_dual_mov_b32 v2, 0 :: v_dual_add_nc_u32 v5, s0, v4
	s_delay_alu instid0(VALU_DEP_1) | instskip(NEXT) | instid1(VALU_DEP_1)
	v_lshlrev_b64 v[0:1], 3, v[1:2]
	v_add_co_u32 v0, vcc_lo, s2, v0
	s_delay_alu instid0(VALU_DEP_2) | instskip(NEXT) | instid1(VALU_DEP_4)
	v_add_co_ci_u32_e32 v1, vcc_lo, s3, v1, vcc_lo
	v_cmp_gt_i32_e32 vcc_lo, 32, v5
	global_load_b64 v[2:3], v[0:1], off
	v_cndmask_b32_e64 v5, 0, s0, vcc_lo
	s_delay_alu instid0(VALU_DEP_1)
	v_add_lshl_u32 v4, v5, v4, 2
	s_waitcnt vmcnt(0)
	ds_bpermute_b32 v2, v4, v2
	ds_bpermute_b32 v3, v4, v3
	s_waitcnt lgkmcnt(0)
	global_store_b64 v[0:1], v[2:3], off
	s_nop 0
	s_sendmsg sendmsg(MSG_DEALLOC_VGPRS)
	s_endpgm
	.section	.rodata,"a",@progbits
	.p2align	6, 0x0
	.amdhsa_kernel _Z19shuffle_down_kernelILj32EdEvPT0_j
		.amdhsa_group_segment_fixed_size 0
		.amdhsa_private_segment_fixed_size 0
		.amdhsa_kernarg_size 272
		.amdhsa_user_sgpr_count 15
		.amdhsa_user_sgpr_dispatch_ptr 0
		.amdhsa_user_sgpr_queue_ptr 0
		.amdhsa_user_sgpr_kernarg_segment_ptr 1
		.amdhsa_user_sgpr_dispatch_id 0
		.amdhsa_user_sgpr_private_segment_size 0
		.amdhsa_wavefront_size32 1
		.amdhsa_uses_dynamic_stack 0
		.amdhsa_enable_private_segment 0
		.amdhsa_system_sgpr_workgroup_id_x 1
		.amdhsa_system_sgpr_workgroup_id_y 0
		.amdhsa_system_sgpr_workgroup_id_z 0
		.amdhsa_system_sgpr_workgroup_info 0
		.amdhsa_system_vgpr_workitem_id 0
		.amdhsa_next_free_vgpr 6
		.amdhsa_next_free_sgpr 16
		.amdhsa_reserve_vcc 1
		.amdhsa_float_round_mode_32 0
		.amdhsa_float_round_mode_16_64 0
		.amdhsa_float_denorm_mode_32 3
		.amdhsa_float_denorm_mode_16_64 3
		.amdhsa_dx10_clamp 1
		.amdhsa_ieee_mode 1
		.amdhsa_fp16_overflow 0
		.amdhsa_workgroup_processor_mode 1
		.amdhsa_memory_ordered 1
		.amdhsa_forward_progress 0
		.amdhsa_shared_vgpr_count 0
		.amdhsa_exception_fp_ieee_invalid_op 0
		.amdhsa_exception_fp_denorm_src 0
		.amdhsa_exception_fp_ieee_div_zero 0
		.amdhsa_exception_fp_ieee_overflow 0
		.amdhsa_exception_fp_ieee_underflow 0
		.amdhsa_exception_fp_ieee_inexact 0
		.amdhsa_exception_int_div_zero 0
	.end_amdhsa_kernel
	.section	.text._Z19shuffle_down_kernelILj32EdEvPT0_j,"axG",@progbits,_Z19shuffle_down_kernelILj32EdEvPT0_j,comdat
.Lfunc_end24:
	.size	_Z19shuffle_down_kernelILj32EdEvPT0_j, .Lfunc_end24-_Z19shuffle_down_kernelILj32EdEvPT0_j
                                        ; -- End function
	.section	.AMDGPU.csdata,"",@progbits
; Kernel info:
; codeLenInByte = 172
; NumSgprs: 18
; NumVgprs: 6
; ScratchSize: 0
; MemoryBound: 0
; FloatMode: 240
; IeeeMode: 1
; LDSByteSize: 0 bytes/workgroup (compile time only)
; SGPRBlocks: 2
; VGPRBlocks: 0
; NumSGPRsForWavesPerEU: 18
; NumVGPRsForWavesPerEU: 6
; Occupancy: 16
; WaveLimiterHint : 0
; COMPUTE_PGM_RSRC2:SCRATCH_EN: 0
; COMPUTE_PGM_RSRC2:USER_SGPR: 15
; COMPUTE_PGM_RSRC2:TRAP_HANDLER: 0
; COMPUTE_PGM_RSRC2:TGID_X_EN: 1
; COMPUTE_PGM_RSRC2:TGID_Y_EN: 0
; COMPUTE_PGM_RSRC2:TGID_Z_EN: 0
; COMPUTE_PGM_RSRC2:TIDIG_COMP_CNT: 0
	.section	.text._Z19shuffle_down_kernelILj32EfEvPT0_j,"axG",@progbits,_Z19shuffle_down_kernelILj32EfEvPT0_j,comdat
	.protected	_Z19shuffle_down_kernelILj32EfEvPT0_j ; -- Begin function _Z19shuffle_down_kernelILj32EfEvPT0_j
	.globl	_Z19shuffle_down_kernelILj32EfEvPT0_j
	.p2align	8
	.type	_Z19shuffle_down_kernelILj32EfEvPT0_j,@function
_Z19shuffle_down_kernelILj32EfEvPT0_j:  ; @_Z19shuffle_down_kernelILj32EfEvPT0_j
; %bb.0:
	s_clause 0x2
	s_load_b32 s4, s[0:1], 0x1c
	s_load_b64 s[2:3], s[0:1], 0x0
	s_load_b32 s0, s[0:1], 0x8
	v_mbcnt_lo_u32_b32 v3, -1, 0
	s_waitcnt lgkmcnt(0)
	s_and_b32 s4, s4, 0xffff
	s_delay_alu instid0(VALU_DEP_1) | instskip(SKIP_2) | instid1(VALU_DEP_1)
	v_add_nc_u32_e32 v4, s0, v3
	v_mad_u64_u32 v[1:2], null, s15, s4, v[0:1]
	v_mov_b32_e32 v2, 0
	v_lshlrev_b64 v[0:1], 2, v[1:2]
	s_delay_alu instid0(VALU_DEP_1) | instskip(NEXT) | instid1(VALU_DEP_2)
	v_add_co_u32 v0, vcc_lo, s2, v0
	v_add_co_ci_u32_e32 v1, vcc_lo, s3, v1, vcc_lo
	v_cmp_gt_i32_e32 vcc_lo, 32, v4
	global_load_b32 v2, v[0:1], off
	v_cndmask_b32_e64 v4, 0, s0, vcc_lo
	s_delay_alu instid0(VALU_DEP_1)
	v_add_lshl_u32 v3, v4, v3, 2
	s_waitcnt vmcnt(0)
	ds_bpermute_b32 v2, v3, v2
	s_waitcnt lgkmcnt(0)
	global_store_b32 v[0:1], v2, off
	s_nop 0
	s_sendmsg sendmsg(MSG_DEALLOC_VGPRS)
	s_endpgm
	.section	.rodata,"a",@progbits
	.p2align	6, 0x0
	.amdhsa_kernel _Z19shuffle_down_kernelILj32EfEvPT0_j
		.amdhsa_group_segment_fixed_size 0
		.amdhsa_private_segment_fixed_size 0
		.amdhsa_kernarg_size 272
		.amdhsa_user_sgpr_count 15
		.amdhsa_user_sgpr_dispatch_ptr 0
		.amdhsa_user_sgpr_queue_ptr 0
		.amdhsa_user_sgpr_kernarg_segment_ptr 1
		.amdhsa_user_sgpr_dispatch_id 0
		.amdhsa_user_sgpr_private_segment_size 0
		.amdhsa_wavefront_size32 1
		.amdhsa_uses_dynamic_stack 0
		.amdhsa_enable_private_segment 0
		.amdhsa_system_sgpr_workgroup_id_x 1
		.amdhsa_system_sgpr_workgroup_id_y 0
		.amdhsa_system_sgpr_workgroup_id_z 0
		.amdhsa_system_sgpr_workgroup_info 0
		.amdhsa_system_vgpr_workitem_id 0
		.amdhsa_next_free_vgpr 5
		.amdhsa_next_free_sgpr 16
		.amdhsa_reserve_vcc 1
		.amdhsa_float_round_mode_32 0
		.amdhsa_float_round_mode_16_64 0
		.amdhsa_float_denorm_mode_32 3
		.amdhsa_float_denorm_mode_16_64 3
		.amdhsa_dx10_clamp 1
		.amdhsa_ieee_mode 1
		.amdhsa_fp16_overflow 0
		.amdhsa_workgroup_processor_mode 1
		.amdhsa_memory_ordered 1
		.amdhsa_forward_progress 0
		.amdhsa_shared_vgpr_count 0
		.amdhsa_exception_fp_ieee_invalid_op 0
		.amdhsa_exception_fp_denorm_src 0
		.amdhsa_exception_fp_ieee_div_zero 0
		.amdhsa_exception_fp_ieee_overflow 0
		.amdhsa_exception_fp_ieee_underflow 0
		.amdhsa_exception_fp_ieee_inexact 0
		.amdhsa_exception_int_div_zero 0
	.end_amdhsa_kernel
	.section	.text._Z19shuffle_down_kernelILj32EfEvPT0_j,"axG",@progbits,_Z19shuffle_down_kernelILj32EfEvPT0_j,comdat
.Lfunc_end25:
	.size	_Z19shuffle_down_kernelILj32EfEvPT0_j, .Lfunc_end25-_Z19shuffle_down_kernelILj32EfEvPT0_j
                                        ; -- End function
	.section	.AMDGPU.csdata,"",@progbits
; Kernel info:
; codeLenInByte = 160
; NumSgprs: 18
; NumVgprs: 5
; ScratchSize: 0
; MemoryBound: 0
; FloatMode: 240
; IeeeMode: 1
; LDSByteSize: 0 bytes/workgroup (compile time only)
; SGPRBlocks: 2
; VGPRBlocks: 0
; NumSGPRsForWavesPerEU: 18
; NumVGPRsForWavesPerEU: 5
; Occupancy: 16
; WaveLimiterHint : 0
; COMPUTE_PGM_RSRC2:SCRATCH_EN: 0
; COMPUTE_PGM_RSRC2:USER_SGPR: 15
; COMPUTE_PGM_RSRC2:TRAP_HANDLER: 0
; COMPUTE_PGM_RSRC2:TGID_X_EN: 1
; COMPUTE_PGM_RSRC2:TGID_Y_EN: 0
; COMPUTE_PGM_RSRC2:TGID_Z_EN: 0
; COMPUTE_PGM_RSRC2:TIDIG_COMP_CNT: 0
	.section	.text._Z19shuffle_down_kernelILj2EiEvPT0_j,"axG",@progbits,_Z19shuffle_down_kernelILj2EiEvPT0_j,comdat
	.protected	_Z19shuffle_down_kernelILj2EiEvPT0_j ; -- Begin function _Z19shuffle_down_kernelILj2EiEvPT0_j
	.globl	_Z19shuffle_down_kernelILj2EiEvPT0_j
	.p2align	8
	.type	_Z19shuffle_down_kernelILj2EiEvPT0_j,@function
_Z19shuffle_down_kernelILj2EiEvPT0_j:   ; @_Z19shuffle_down_kernelILj2EiEvPT0_j
; %bb.0:
	s_clause 0x2
	s_load_b32 s4, s[0:1], 0x1c
	s_load_b64 s[2:3], s[0:1], 0x0
	s_load_b32 s0, s[0:1], 0x8
	v_mbcnt_lo_u32_b32 v3, -1, 0
	s_delay_alu instid0(VALU_DEP_1) | instskip(SKIP_2) | instid1(VALU_DEP_1)
	v_and_b32_e32 v4, 1, v3
	s_waitcnt lgkmcnt(0)
	s_and_b32 s4, s4, 0xffff
	v_add_nc_u32_e32 v4, s0, v4
	v_mad_u64_u32 v[1:2], null, s15, s4, v[0:1]
	v_mov_b32_e32 v2, 0
	s_delay_alu instid0(VALU_DEP_1) | instskip(NEXT) | instid1(VALU_DEP_1)
	v_lshlrev_b64 v[0:1], 2, v[1:2]
	v_add_co_u32 v0, vcc_lo, s2, v0
	s_delay_alu instid0(VALU_DEP_2) | instskip(SKIP_3) | instid1(VALU_DEP_1)
	v_add_co_ci_u32_e32 v1, vcc_lo, s3, v1, vcc_lo
	v_cmp_gt_i32_e32 vcc_lo, 2, v4
	global_load_b32 v2, v[0:1], off
	v_cndmask_b32_e64 v4, 0, s0, vcc_lo
	v_add_lshl_u32 v3, v4, v3, 2
	s_waitcnt vmcnt(0)
	ds_bpermute_b32 v2, v3, v2
	s_waitcnt lgkmcnt(0)
	global_store_b32 v[0:1], v2, off
	s_nop 0
	s_sendmsg sendmsg(MSG_DEALLOC_VGPRS)
	s_endpgm
	.section	.rodata,"a",@progbits
	.p2align	6, 0x0
	.amdhsa_kernel _Z19shuffle_down_kernelILj2EiEvPT0_j
		.amdhsa_group_segment_fixed_size 0
		.amdhsa_private_segment_fixed_size 0
		.amdhsa_kernarg_size 272
		.amdhsa_user_sgpr_count 15
		.amdhsa_user_sgpr_dispatch_ptr 0
		.amdhsa_user_sgpr_queue_ptr 0
		.amdhsa_user_sgpr_kernarg_segment_ptr 1
		.amdhsa_user_sgpr_dispatch_id 0
		.amdhsa_user_sgpr_private_segment_size 0
		.amdhsa_wavefront_size32 1
		.amdhsa_uses_dynamic_stack 0
		.amdhsa_enable_private_segment 0
		.amdhsa_system_sgpr_workgroup_id_x 1
		.amdhsa_system_sgpr_workgroup_id_y 0
		.amdhsa_system_sgpr_workgroup_id_z 0
		.amdhsa_system_sgpr_workgroup_info 0
		.amdhsa_system_vgpr_workitem_id 0
		.amdhsa_next_free_vgpr 5
		.amdhsa_next_free_sgpr 16
		.amdhsa_reserve_vcc 1
		.amdhsa_float_round_mode_32 0
		.amdhsa_float_round_mode_16_64 0
		.amdhsa_float_denorm_mode_32 3
		.amdhsa_float_denorm_mode_16_64 3
		.amdhsa_dx10_clamp 1
		.amdhsa_ieee_mode 1
		.amdhsa_fp16_overflow 0
		.amdhsa_workgroup_processor_mode 1
		.amdhsa_memory_ordered 1
		.amdhsa_forward_progress 0
		.amdhsa_shared_vgpr_count 0
		.amdhsa_exception_fp_ieee_invalid_op 0
		.amdhsa_exception_fp_denorm_src 0
		.amdhsa_exception_fp_ieee_div_zero 0
		.amdhsa_exception_fp_ieee_overflow 0
		.amdhsa_exception_fp_ieee_underflow 0
		.amdhsa_exception_fp_ieee_inexact 0
		.amdhsa_exception_int_div_zero 0
	.end_amdhsa_kernel
	.section	.text._Z19shuffle_down_kernelILj2EiEvPT0_j,"axG",@progbits,_Z19shuffle_down_kernelILj2EiEvPT0_j,comdat
.Lfunc_end26:
	.size	_Z19shuffle_down_kernelILj2EiEvPT0_j, .Lfunc_end26-_Z19shuffle_down_kernelILj2EiEvPT0_j
                                        ; -- End function
	.section	.AMDGPU.csdata,"",@progbits
; Kernel info:
; codeLenInByte = 164
; NumSgprs: 18
; NumVgprs: 5
; ScratchSize: 0
; MemoryBound: 0
; FloatMode: 240
; IeeeMode: 1
; LDSByteSize: 0 bytes/workgroup (compile time only)
; SGPRBlocks: 2
; VGPRBlocks: 0
; NumSGPRsForWavesPerEU: 18
; NumVGPRsForWavesPerEU: 5
; Occupancy: 16
; WaveLimiterHint : 0
; COMPUTE_PGM_RSRC2:SCRATCH_EN: 0
; COMPUTE_PGM_RSRC2:USER_SGPR: 15
; COMPUTE_PGM_RSRC2:TRAP_HANDLER: 0
; COMPUTE_PGM_RSRC2:TGID_X_EN: 1
; COMPUTE_PGM_RSRC2:TGID_Y_EN: 0
; COMPUTE_PGM_RSRC2:TGID_Z_EN: 0
; COMPUTE_PGM_RSRC2:TIDIG_COMP_CNT: 0
	.section	.text._Z19shuffle_down_kernelILj4EiEvPT0_j,"axG",@progbits,_Z19shuffle_down_kernelILj4EiEvPT0_j,comdat
	.protected	_Z19shuffle_down_kernelILj4EiEvPT0_j ; -- Begin function _Z19shuffle_down_kernelILj4EiEvPT0_j
	.globl	_Z19shuffle_down_kernelILj4EiEvPT0_j
	.p2align	8
	.type	_Z19shuffle_down_kernelILj4EiEvPT0_j,@function
_Z19shuffle_down_kernelILj4EiEvPT0_j:   ; @_Z19shuffle_down_kernelILj4EiEvPT0_j
; %bb.0:
	s_clause 0x2
	s_load_b32 s4, s[0:1], 0x1c
	s_load_b64 s[2:3], s[0:1], 0x0
	s_load_b32 s0, s[0:1], 0x8
	v_mbcnt_lo_u32_b32 v3, -1, 0
	s_delay_alu instid0(VALU_DEP_1) | instskip(SKIP_2) | instid1(VALU_DEP_1)
	v_and_b32_e32 v4, 3, v3
	s_waitcnt lgkmcnt(0)
	s_and_b32 s4, s4, 0xffff
	v_add_nc_u32_e32 v4, s0, v4
	v_mad_u64_u32 v[1:2], null, s15, s4, v[0:1]
	v_mov_b32_e32 v2, 0
	s_delay_alu instid0(VALU_DEP_1) | instskip(NEXT) | instid1(VALU_DEP_1)
	v_lshlrev_b64 v[0:1], 2, v[1:2]
	v_add_co_u32 v0, vcc_lo, s2, v0
	s_delay_alu instid0(VALU_DEP_2) | instskip(SKIP_3) | instid1(VALU_DEP_1)
	v_add_co_ci_u32_e32 v1, vcc_lo, s3, v1, vcc_lo
	v_cmp_gt_i32_e32 vcc_lo, 4, v4
	global_load_b32 v2, v[0:1], off
	v_cndmask_b32_e64 v4, 0, s0, vcc_lo
	v_add_lshl_u32 v3, v4, v3, 2
	s_waitcnt vmcnt(0)
	ds_bpermute_b32 v2, v3, v2
	s_waitcnt lgkmcnt(0)
	global_store_b32 v[0:1], v2, off
	s_nop 0
	s_sendmsg sendmsg(MSG_DEALLOC_VGPRS)
	s_endpgm
	.section	.rodata,"a",@progbits
	.p2align	6, 0x0
	.amdhsa_kernel _Z19shuffle_down_kernelILj4EiEvPT0_j
		.amdhsa_group_segment_fixed_size 0
		.amdhsa_private_segment_fixed_size 0
		.amdhsa_kernarg_size 272
		.amdhsa_user_sgpr_count 15
		.amdhsa_user_sgpr_dispatch_ptr 0
		.amdhsa_user_sgpr_queue_ptr 0
		.amdhsa_user_sgpr_kernarg_segment_ptr 1
		.amdhsa_user_sgpr_dispatch_id 0
		.amdhsa_user_sgpr_private_segment_size 0
		.amdhsa_wavefront_size32 1
		.amdhsa_uses_dynamic_stack 0
		.amdhsa_enable_private_segment 0
		.amdhsa_system_sgpr_workgroup_id_x 1
		.amdhsa_system_sgpr_workgroup_id_y 0
		.amdhsa_system_sgpr_workgroup_id_z 0
		.amdhsa_system_sgpr_workgroup_info 0
		.amdhsa_system_vgpr_workitem_id 0
		.amdhsa_next_free_vgpr 5
		.amdhsa_next_free_sgpr 16
		.amdhsa_reserve_vcc 1
		.amdhsa_float_round_mode_32 0
		.amdhsa_float_round_mode_16_64 0
		.amdhsa_float_denorm_mode_32 3
		.amdhsa_float_denorm_mode_16_64 3
		.amdhsa_dx10_clamp 1
		.amdhsa_ieee_mode 1
		.amdhsa_fp16_overflow 0
		.amdhsa_workgroup_processor_mode 1
		.amdhsa_memory_ordered 1
		.amdhsa_forward_progress 0
		.amdhsa_shared_vgpr_count 0
		.amdhsa_exception_fp_ieee_invalid_op 0
		.amdhsa_exception_fp_denorm_src 0
		.amdhsa_exception_fp_ieee_div_zero 0
		.amdhsa_exception_fp_ieee_overflow 0
		.amdhsa_exception_fp_ieee_underflow 0
		.amdhsa_exception_fp_ieee_inexact 0
		.amdhsa_exception_int_div_zero 0
	.end_amdhsa_kernel
	.section	.text._Z19shuffle_down_kernelILj4EiEvPT0_j,"axG",@progbits,_Z19shuffle_down_kernelILj4EiEvPT0_j,comdat
.Lfunc_end27:
	.size	_Z19shuffle_down_kernelILj4EiEvPT0_j, .Lfunc_end27-_Z19shuffle_down_kernelILj4EiEvPT0_j
                                        ; -- End function
	.section	.AMDGPU.csdata,"",@progbits
; Kernel info:
; codeLenInByte = 164
; NumSgprs: 18
; NumVgprs: 5
; ScratchSize: 0
; MemoryBound: 0
; FloatMode: 240
; IeeeMode: 1
; LDSByteSize: 0 bytes/workgroup (compile time only)
; SGPRBlocks: 2
; VGPRBlocks: 0
; NumSGPRsForWavesPerEU: 18
; NumVGPRsForWavesPerEU: 5
; Occupancy: 16
; WaveLimiterHint : 0
; COMPUTE_PGM_RSRC2:SCRATCH_EN: 0
; COMPUTE_PGM_RSRC2:USER_SGPR: 15
; COMPUTE_PGM_RSRC2:TRAP_HANDLER: 0
; COMPUTE_PGM_RSRC2:TGID_X_EN: 1
; COMPUTE_PGM_RSRC2:TGID_Y_EN: 0
; COMPUTE_PGM_RSRC2:TGID_Z_EN: 0
; COMPUTE_PGM_RSRC2:TIDIG_COMP_CNT: 0
	.section	.text._Z19shuffle_down_kernelILj8EiEvPT0_j,"axG",@progbits,_Z19shuffle_down_kernelILj8EiEvPT0_j,comdat
	.protected	_Z19shuffle_down_kernelILj8EiEvPT0_j ; -- Begin function _Z19shuffle_down_kernelILj8EiEvPT0_j
	.globl	_Z19shuffle_down_kernelILj8EiEvPT0_j
	.p2align	8
	.type	_Z19shuffle_down_kernelILj8EiEvPT0_j,@function
_Z19shuffle_down_kernelILj8EiEvPT0_j:   ; @_Z19shuffle_down_kernelILj8EiEvPT0_j
; %bb.0:
	s_clause 0x2
	s_load_b32 s4, s[0:1], 0x1c
	s_load_b64 s[2:3], s[0:1], 0x0
	s_load_b32 s0, s[0:1], 0x8
	v_mbcnt_lo_u32_b32 v3, -1, 0
	s_delay_alu instid0(VALU_DEP_1) | instskip(SKIP_2) | instid1(VALU_DEP_1)
	v_and_b32_e32 v4, 7, v3
	s_waitcnt lgkmcnt(0)
	s_and_b32 s4, s4, 0xffff
	v_add_nc_u32_e32 v4, s0, v4
	v_mad_u64_u32 v[1:2], null, s15, s4, v[0:1]
	v_mov_b32_e32 v2, 0
	s_delay_alu instid0(VALU_DEP_1) | instskip(NEXT) | instid1(VALU_DEP_1)
	v_lshlrev_b64 v[0:1], 2, v[1:2]
	v_add_co_u32 v0, vcc_lo, s2, v0
	s_delay_alu instid0(VALU_DEP_2) | instskip(SKIP_3) | instid1(VALU_DEP_1)
	v_add_co_ci_u32_e32 v1, vcc_lo, s3, v1, vcc_lo
	v_cmp_gt_i32_e32 vcc_lo, 8, v4
	global_load_b32 v2, v[0:1], off
	v_cndmask_b32_e64 v4, 0, s0, vcc_lo
	v_add_lshl_u32 v3, v4, v3, 2
	s_waitcnt vmcnt(0)
	ds_bpermute_b32 v2, v3, v2
	s_waitcnt lgkmcnt(0)
	global_store_b32 v[0:1], v2, off
	s_nop 0
	s_sendmsg sendmsg(MSG_DEALLOC_VGPRS)
	s_endpgm
	.section	.rodata,"a",@progbits
	.p2align	6, 0x0
	.amdhsa_kernel _Z19shuffle_down_kernelILj8EiEvPT0_j
		.amdhsa_group_segment_fixed_size 0
		.amdhsa_private_segment_fixed_size 0
		.amdhsa_kernarg_size 272
		.amdhsa_user_sgpr_count 15
		.amdhsa_user_sgpr_dispatch_ptr 0
		.amdhsa_user_sgpr_queue_ptr 0
		.amdhsa_user_sgpr_kernarg_segment_ptr 1
		.amdhsa_user_sgpr_dispatch_id 0
		.amdhsa_user_sgpr_private_segment_size 0
		.amdhsa_wavefront_size32 1
		.amdhsa_uses_dynamic_stack 0
		.amdhsa_enable_private_segment 0
		.amdhsa_system_sgpr_workgroup_id_x 1
		.amdhsa_system_sgpr_workgroup_id_y 0
		.amdhsa_system_sgpr_workgroup_id_z 0
		.amdhsa_system_sgpr_workgroup_info 0
		.amdhsa_system_vgpr_workitem_id 0
		.amdhsa_next_free_vgpr 5
		.amdhsa_next_free_sgpr 16
		.amdhsa_reserve_vcc 1
		.amdhsa_float_round_mode_32 0
		.amdhsa_float_round_mode_16_64 0
		.amdhsa_float_denorm_mode_32 3
		.amdhsa_float_denorm_mode_16_64 3
		.amdhsa_dx10_clamp 1
		.amdhsa_ieee_mode 1
		.amdhsa_fp16_overflow 0
		.amdhsa_workgroup_processor_mode 1
		.amdhsa_memory_ordered 1
		.amdhsa_forward_progress 0
		.amdhsa_shared_vgpr_count 0
		.amdhsa_exception_fp_ieee_invalid_op 0
		.amdhsa_exception_fp_denorm_src 0
		.amdhsa_exception_fp_ieee_div_zero 0
		.amdhsa_exception_fp_ieee_overflow 0
		.amdhsa_exception_fp_ieee_underflow 0
		.amdhsa_exception_fp_ieee_inexact 0
		.amdhsa_exception_int_div_zero 0
	.end_amdhsa_kernel
	.section	.text._Z19shuffle_down_kernelILj8EiEvPT0_j,"axG",@progbits,_Z19shuffle_down_kernelILj8EiEvPT0_j,comdat
.Lfunc_end28:
	.size	_Z19shuffle_down_kernelILj8EiEvPT0_j, .Lfunc_end28-_Z19shuffle_down_kernelILj8EiEvPT0_j
                                        ; -- End function
	.section	.AMDGPU.csdata,"",@progbits
; Kernel info:
; codeLenInByte = 164
; NumSgprs: 18
; NumVgprs: 5
; ScratchSize: 0
; MemoryBound: 0
; FloatMode: 240
; IeeeMode: 1
; LDSByteSize: 0 bytes/workgroup (compile time only)
; SGPRBlocks: 2
; VGPRBlocks: 0
; NumSGPRsForWavesPerEU: 18
; NumVGPRsForWavesPerEU: 5
; Occupancy: 16
; WaveLimiterHint : 0
; COMPUTE_PGM_RSRC2:SCRATCH_EN: 0
; COMPUTE_PGM_RSRC2:USER_SGPR: 15
; COMPUTE_PGM_RSRC2:TRAP_HANDLER: 0
; COMPUTE_PGM_RSRC2:TGID_X_EN: 1
; COMPUTE_PGM_RSRC2:TGID_Y_EN: 0
; COMPUTE_PGM_RSRC2:TGID_Z_EN: 0
; COMPUTE_PGM_RSRC2:TIDIG_COMP_CNT: 0
	.section	.text._Z19shuffle_down_kernelILj16EiEvPT0_j,"axG",@progbits,_Z19shuffle_down_kernelILj16EiEvPT0_j,comdat
	.protected	_Z19shuffle_down_kernelILj16EiEvPT0_j ; -- Begin function _Z19shuffle_down_kernelILj16EiEvPT0_j
	.globl	_Z19shuffle_down_kernelILj16EiEvPT0_j
	.p2align	8
	.type	_Z19shuffle_down_kernelILj16EiEvPT0_j,@function
_Z19shuffle_down_kernelILj16EiEvPT0_j:  ; @_Z19shuffle_down_kernelILj16EiEvPT0_j
; %bb.0:
	s_clause 0x2
	s_load_b32 s4, s[0:1], 0x1c
	s_load_b64 s[2:3], s[0:1], 0x0
	s_load_b32 s0, s[0:1], 0x8
	v_mbcnt_lo_u32_b32 v3, -1, 0
	s_delay_alu instid0(VALU_DEP_1) | instskip(SKIP_2) | instid1(VALU_DEP_1)
	v_and_b32_e32 v4, 15, v3
	s_waitcnt lgkmcnt(0)
	s_and_b32 s4, s4, 0xffff
	v_add_nc_u32_e32 v4, s0, v4
	v_mad_u64_u32 v[1:2], null, s15, s4, v[0:1]
	v_mov_b32_e32 v2, 0
	s_delay_alu instid0(VALU_DEP_1) | instskip(NEXT) | instid1(VALU_DEP_1)
	v_lshlrev_b64 v[0:1], 2, v[1:2]
	v_add_co_u32 v0, vcc_lo, s2, v0
	s_delay_alu instid0(VALU_DEP_2) | instskip(SKIP_3) | instid1(VALU_DEP_1)
	v_add_co_ci_u32_e32 v1, vcc_lo, s3, v1, vcc_lo
	v_cmp_gt_i32_e32 vcc_lo, 16, v4
	global_load_b32 v2, v[0:1], off
	v_cndmask_b32_e64 v4, 0, s0, vcc_lo
	v_add_lshl_u32 v3, v4, v3, 2
	s_waitcnt vmcnt(0)
	ds_bpermute_b32 v2, v3, v2
	s_waitcnt lgkmcnt(0)
	global_store_b32 v[0:1], v2, off
	s_nop 0
	s_sendmsg sendmsg(MSG_DEALLOC_VGPRS)
	s_endpgm
	.section	.rodata,"a",@progbits
	.p2align	6, 0x0
	.amdhsa_kernel _Z19shuffle_down_kernelILj16EiEvPT0_j
		.amdhsa_group_segment_fixed_size 0
		.amdhsa_private_segment_fixed_size 0
		.amdhsa_kernarg_size 272
		.amdhsa_user_sgpr_count 15
		.amdhsa_user_sgpr_dispatch_ptr 0
		.amdhsa_user_sgpr_queue_ptr 0
		.amdhsa_user_sgpr_kernarg_segment_ptr 1
		.amdhsa_user_sgpr_dispatch_id 0
		.amdhsa_user_sgpr_private_segment_size 0
		.amdhsa_wavefront_size32 1
		.amdhsa_uses_dynamic_stack 0
		.amdhsa_enable_private_segment 0
		.amdhsa_system_sgpr_workgroup_id_x 1
		.amdhsa_system_sgpr_workgroup_id_y 0
		.amdhsa_system_sgpr_workgroup_id_z 0
		.amdhsa_system_sgpr_workgroup_info 0
		.amdhsa_system_vgpr_workitem_id 0
		.amdhsa_next_free_vgpr 5
		.amdhsa_next_free_sgpr 16
		.amdhsa_reserve_vcc 1
		.amdhsa_float_round_mode_32 0
		.amdhsa_float_round_mode_16_64 0
		.amdhsa_float_denorm_mode_32 3
		.amdhsa_float_denorm_mode_16_64 3
		.amdhsa_dx10_clamp 1
		.amdhsa_ieee_mode 1
		.amdhsa_fp16_overflow 0
		.amdhsa_workgroup_processor_mode 1
		.amdhsa_memory_ordered 1
		.amdhsa_forward_progress 0
		.amdhsa_shared_vgpr_count 0
		.amdhsa_exception_fp_ieee_invalid_op 0
		.amdhsa_exception_fp_denorm_src 0
		.amdhsa_exception_fp_ieee_div_zero 0
		.amdhsa_exception_fp_ieee_overflow 0
		.amdhsa_exception_fp_ieee_underflow 0
		.amdhsa_exception_fp_ieee_inexact 0
		.amdhsa_exception_int_div_zero 0
	.end_amdhsa_kernel
	.section	.text._Z19shuffle_down_kernelILj16EiEvPT0_j,"axG",@progbits,_Z19shuffle_down_kernelILj16EiEvPT0_j,comdat
.Lfunc_end29:
	.size	_Z19shuffle_down_kernelILj16EiEvPT0_j, .Lfunc_end29-_Z19shuffle_down_kernelILj16EiEvPT0_j
                                        ; -- End function
	.section	.AMDGPU.csdata,"",@progbits
; Kernel info:
; codeLenInByte = 164
; NumSgprs: 18
; NumVgprs: 5
; ScratchSize: 0
; MemoryBound: 0
; FloatMode: 240
; IeeeMode: 1
; LDSByteSize: 0 bytes/workgroup (compile time only)
; SGPRBlocks: 2
; VGPRBlocks: 0
; NumSGPRsForWavesPerEU: 18
; NumVGPRsForWavesPerEU: 5
; Occupancy: 16
; WaveLimiterHint : 0
; COMPUTE_PGM_RSRC2:SCRATCH_EN: 0
; COMPUTE_PGM_RSRC2:USER_SGPR: 15
; COMPUTE_PGM_RSRC2:TRAP_HANDLER: 0
; COMPUTE_PGM_RSRC2:TGID_X_EN: 1
; COMPUTE_PGM_RSRC2:TGID_Y_EN: 0
; COMPUTE_PGM_RSRC2:TGID_Z_EN: 0
; COMPUTE_PGM_RSRC2:TIDIG_COMP_CNT: 0
	.section	.text._Z19shuffle_down_kernelILj32EiEvPT0_j,"axG",@progbits,_Z19shuffle_down_kernelILj32EiEvPT0_j,comdat
	.protected	_Z19shuffle_down_kernelILj32EiEvPT0_j ; -- Begin function _Z19shuffle_down_kernelILj32EiEvPT0_j
	.globl	_Z19shuffle_down_kernelILj32EiEvPT0_j
	.p2align	8
	.type	_Z19shuffle_down_kernelILj32EiEvPT0_j,@function
_Z19shuffle_down_kernelILj32EiEvPT0_j:  ; @_Z19shuffle_down_kernelILj32EiEvPT0_j
; %bb.0:
	s_clause 0x2
	s_load_b32 s4, s[0:1], 0x1c
	s_load_b64 s[2:3], s[0:1], 0x0
	s_load_b32 s0, s[0:1], 0x8
	v_mbcnt_lo_u32_b32 v3, -1, 0
	s_waitcnt lgkmcnt(0)
	s_and_b32 s4, s4, 0xffff
	s_delay_alu instid0(VALU_DEP_1) | instskip(SKIP_2) | instid1(VALU_DEP_1)
	v_add_nc_u32_e32 v4, s0, v3
	v_mad_u64_u32 v[1:2], null, s15, s4, v[0:1]
	v_mov_b32_e32 v2, 0
	v_lshlrev_b64 v[0:1], 2, v[1:2]
	s_delay_alu instid0(VALU_DEP_1) | instskip(NEXT) | instid1(VALU_DEP_2)
	v_add_co_u32 v0, vcc_lo, s2, v0
	v_add_co_ci_u32_e32 v1, vcc_lo, s3, v1, vcc_lo
	v_cmp_gt_i32_e32 vcc_lo, 32, v4
	global_load_b32 v2, v[0:1], off
	v_cndmask_b32_e64 v4, 0, s0, vcc_lo
	s_delay_alu instid0(VALU_DEP_1)
	v_add_lshl_u32 v3, v4, v3, 2
	s_waitcnt vmcnt(0)
	ds_bpermute_b32 v2, v3, v2
	s_waitcnt lgkmcnt(0)
	global_store_b32 v[0:1], v2, off
	s_nop 0
	s_sendmsg sendmsg(MSG_DEALLOC_VGPRS)
	s_endpgm
	.section	.rodata,"a",@progbits
	.p2align	6, 0x0
	.amdhsa_kernel _Z19shuffle_down_kernelILj32EiEvPT0_j
		.amdhsa_group_segment_fixed_size 0
		.amdhsa_private_segment_fixed_size 0
		.amdhsa_kernarg_size 272
		.amdhsa_user_sgpr_count 15
		.amdhsa_user_sgpr_dispatch_ptr 0
		.amdhsa_user_sgpr_queue_ptr 0
		.amdhsa_user_sgpr_kernarg_segment_ptr 1
		.amdhsa_user_sgpr_dispatch_id 0
		.amdhsa_user_sgpr_private_segment_size 0
		.amdhsa_wavefront_size32 1
		.amdhsa_uses_dynamic_stack 0
		.amdhsa_enable_private_segment 0
		.amdhsa_system_sgpr_workgroup_id_x 1
		.amdhsa_system_sgpr_workgroup_id_y 0
		.amdhsa_system_sgpr_workgroup_id_z 0
		.amdhsa_system_sgpr_workgroup_info 0
		.amdhsa_system_vgpr_workitem_id 0
		.amdhsa_next_free_vgpr 5
		.amdhsa_next_free_sgpr 16
		.amdhsa_reserve_vcc 1
		.amdhsa_float_round_mode_32 0
		.amdhsa_float_round_mode_16_64 0
		.amdhsa_float_denorm_mode_32 3
		.amdhsa_float_denorm_mode_16_64 3
		.amdhsa_dx10_clamp 1
		.amdhsa_ieee_mode 1
		.amdhsa_fp16_overflow 0
		.amdhsa_workgroup_processor_mode 1
		.amdhsa_memory_ordered 1
		.amdhsa_forward_progress 0
		.amdhsa_shared_vgpr_count 0
		.amdhsa_exception_fp_ieee_invalid_op 0
		.amdhsa_exception_fp_denorm_src 0
		.amdhsa_exception_fp_ieee_div_zero 0
		.amdhsa_exception_fp_ieee_overflow 0
		.amdhsa_exception_fp_ieee_underflow 0
		.amdhsa_exception_fp_ieee_inexact 0
		.amdhsa_exception_int_div_zero 0
	.end_amdhsa_kernel
	.section	.text._Z19shuffle_down_kernelILj32EiEvPT0_j,"axG",@progbits,_Z19shuffle_down_kernelILj32EiEvPT0_j,comdat
.Lfunc_end30:
	.size	_Z19shuffle_down_kernelILj32EiEvPT0_j, .Lfunc_end30-_Z19shuffle_down_kernelILj32EiEvPT0_j
                                        ; -- End function
	.section	.AMDGPU.csdata,"",@progbits
; Kernel info:
; codeLenInByte = 160
; NumSgprs: 18
; NumVgprs: 5
; ScratchSize: 0
; MemoryBound: 0
; FloatMode: 240
; IeeeMode: 1
; LDSByteSize: 0 bytes/workgroup (compile time only)
; SGPRBlocks: 2
; VGPRBlocks: 0
; NumSGPRsForWavesPerEU: 18
; NumVGPRsForWavesPerEU: 5
; Occupancy: 16
; WaveLimiterHint : 0
; COMPUTE_PGM_RSRC2:SCRATCH_EN: 0
; COMPUTE_PGM_RSRC2:USER_SGPR: 15
; COMPUTE_PGM_RSRC2:TRAP_HANDLER: 0
; COMPUTE_PGM_RSRC2:TGID_X_EN: 1
; COMPUTE_PGM_RSRC2:TGID_Y_EN: 0
; COMPUTE_PGM_RSRC2:TGID_Z_EN: 0
; COMPUTE_PGM_RSRC2:TIDIG_COMP_CNT: 0
	.section	.text._Z20shuffle_index_kernelILj64E12hip_bfloat16EvPT0_Pi,"axG",@progbits,_Z20shuffle_index_kernelILj64E12hip_bfloat16EvPT0_Pi,comdat
	.protected	_Z20shuffle_index_kernelILj64E12hip_bfloat16EvPT0_Pi ; -- Begin function _Z20shuffle_index_kernelILj64E12hip_bfloat16EvPT0_Pi
	.globl	_Z20shuffle_index_kernelILj64E12hip_bfloat16EvPT0_Pi
	.p2align	8
	.type	_Z20shuffle_index_kernelILj64E12hip_bfloat16EvPT0_Pi,@function
_Z20shuffle_index_kernelILj64E12hip_bfloat16EvPT0_Pi: ; @_Z20shuffle_index_kernelILj64E12hip_bfloat16EvPT0_Pi
; %bb.0:
	s_clause 0x1
	s_load_b32 s4, s[0:1], 0x1c
	s_load_b128 s[0:3], s[0:1], 0x0
	s_waitcnt lgkmcnt(0)
	s_and_b32 s4, s4, 0xffff
	s_delay_alu instid0(SALU_CYCLE_1) | instskip(SKIP_1) | instid1(VALU_DEP_1)
	v_mad_u64_u32 v[1:2], null, s15, s4, v[0:1]
	v_lshrrev_b32_e32 v0, 4, v0
	v_dual_mov_b32 v2, 0 :: v_dual_and_b32 v3, 60, v0
	s_delay_alu instid0(VALU_DEP_1)
	v_lshlrev_b64 v[0:1], 1, v[1:2]
	global_load_b32 v2, v3, s[2:3]
	v_add_co_u32 v0, vcc_lo, s0, v0
	v_add_co_ci_u32_e32 v1, vcc_lo, s1, v1, vcc_lo
	global_load_u16 v3, v[0:1], off
	s_waitcnt vmcnt(1)
	v_and_b32_e32 v2, 63, v2
	s_delay_alu instid0(VALU_DEP_1)
	v_lshlrev_b32_e32 v2, 2, v2
	s_waitcnt vmcnt(0)
	ds_bpermute_b32 v2, v2, v3
	s_waitcnt lgkmcnt(0)
	global_store_b16 v[0:1], v2, off
	s_nop 0
	s_sendmsg sendmsg(MSG_DEALLOC_VGPRS)
	s_endpgm
	.section	.rodata,"a",@progbits
	.p2align	6, 0x0
	.amdhsa_kernel _Z20shuffle_index_kernelILj64E12hip_bfloat16EvPT0_Pi
		.amdhsa_group_segment_fixed_size 0
		.amdhsa_private_segment_fixed_size 0
		.amdhsa_kernarg_size 272
		.amdhsa_user_sgpr_count 15
		.amdhsa_user_sgpr_dispatch_ptr 0
		.amdhsa_user_sgpr_queue_ptr 0
		.amdhsa_user_sgpr_kernarg_segment_ptr 1
		.amdhsa_user_sgpr_dispatch_id 0
		.amdhsa_user_sgpr_private_segment_size 0
		.amdhsa_wavefront_size32 1
		.amdhsa_uses_dynamic_stack 0
		.amdhsa_enable_private_segment 0
		.amdhsa_system_sgpr_workgroup_id_x 1
		.amdhsa_system_sgpr_workgroup_id_y 0
		.amdhsa_system_sgpr_workgroup_id_z 0
		.amdhsa_system_sgpr_workgroup_info 0
		.amdhsa_system_vgpr_workitem_id 0
		.amdhsa_next_free_vgpr 4
		.amdhsa_next_free_sgpr 16
		.amdhsa_reserve_vcc 1
		.amdhsa_float_round_mode_32 0
		.amdhsa_float_round_mode_16_64 0
		.amdhsa_float_denorm_mode_32 3
		.amdhsa_float_denorm_mode_16_64 3
		.amdhsa_dx10_clamp 1
		.amdhsa_ieee_mode 1
		.amdhsa_fp16_overflow 0
		.amdhsa_workgroup_processor_mode 1
		.amdhsa_memory_ordered 1
		.amdhsa_forward_progress 0
		.amdhsa_shared_vgpr_count 0
		.amdhsa_exception_fp_ieee_invalid_op 0
		.amdhsa_exception_fp_denorm_src 0
		.amdhsa_exception_fp_ieee_div_zero 0
		.amdhsa_exception_fp_ieee_overflow 0
		.amdhsa_exception_fp_ieee_underflow 0
		.amdhsa_exception_fp_ieee_inexact 0
		.amdhsa_exception_int_div_zero 0
	.end_amdhsa_kernel
	.section	.text._Z20shuffle_index_kernelILj64E12hip_bfloat16EvPT0_Pi,"axG",@progbits,_Z20shuffle_index_kernelILj64E12hip_bfloat16EvPT0_Pi,comdat
.Lfunc_end31:
	.size	_Z20shuffle_index_kernelILj64E12hip_bfloat16EvPT0_Pi, .Lfunc_end31-_Z20shuffle_index_kernelILj64E12hip_bfloat16EvPT0_Pi
                                        ; -- End function
	.section	.AMDGPU.csdata,"",@progbits
; Kernel info:
; codeLenInByte = 148
; NumSgprs: 18
; NumVgprs: 4
; ScratchSize: 0
; MemoryBound: 0
; FloatMode: 240
; IeeeMode: 1
; LDSByteSize: 0 bytes/workgroup (compile time only)
; SGPRBlocks: 2
; VGPRBlocks: 0
; NumSGPRsForWavesPerEU: 18
; NumVGPRsForWavesPerEU: 4
; Occupancy: 16
; WaveLimiterHint : 0
; COMPUTE_PGM_RSRC2:SCRATCH_EN: 0
; COMPUTE_PGM_RSRC2:USER_SGPR: 15
; COMPUTE_PGM_RSRC2:TRAP_HANDLER: 0
; COMPUTE_PGM_RSRC2:TGID_X_EN: 1
; COMPUTE_PGM_RSRC2:TGID_Y_EN: 0
; COMPUTE_PGM_RSRC2:TGID_Z_EN: 0
; COMPUTE_PGM_RSRC2:TIDIG_COMP_CNT: 0
	.section	.text._Z20shuffle_index_kernelILj64E6__halfEvPT0_Pi,"axG",@progbits,_Z20shuffle_index_kernelILj64E6__halfEvPT0_Pi,comdat
	.protected	_Z20shuffle_index_kernelILj64E6__halfEvPT0_Pi ; -- Begin function _Z20shuffle_index_kernelILj64E6__halfEvPT0_Pi
	.globl	_Z20shuffle_index_kernelILj64E6__halfEvPT0_Pi
	.p2align	8
	.type	_Z20shuffle_index_kernelILj64E6__halfEvPT0_Pi,@function
_Z20shuffle_index_kernelILj64E6__halfEvPT0_Pi: ; @_Z20shuffle_index_kernelILj64E6__halfEvPT0_Pi
; %bb.0:
	s_clause 0x1
	s_load_b32 s4, s[0:1], 0x1c
	s_load_b128 s[0:3], s[0:1], 0x0
	s_waitcnt lgkmcnt(0)
	s_and_b32 s4, s4, 0xffff
	s_delay_alu instid0(SALU_CYCLE_1) | instskip(SKIP_1) | instid1(VALU_DEP_1)
	v_mad_u64_u32 v[1:2], null, s15, s4, v[0:1]
	v_lshrrev_b32_e32 v0, 4, v0
	v_dual_mov_b32 v2, 0 :: v_dual_and_b32 v3, 60, v0
	s_delay_alu instid0(VALU_DEP_1)
	v_lshlrev_b64 v[0:1], 1, v[1:2]
	global_load_b32 v2, v3, s[2:3]
	v_add_co_u32 v0, vcc_lo, s0, v0
	v_add_co_ci_u32_e32 v1, vcc_lo, s1, v1, vcc_lo
	global_load_u16 v3, v[0:1], off
	s_waitcnt vmcnt(1)
	v_and_b32_e32 v2, 63, v2
	s_delay_alu instid0(VALU_DEP_1)
	v_lshlrev_b32_e32 v2, 2, v2
	s_waitcnt vmcnt(0)
	ds_bpermute_b32 v2, v2, v3
	s_waitcnt lgkmcnt(0)
	global_store_b16 v[0:1], v2, off
	s_nop 0
	s_sendmsg sendmsg(MSG_DEALLOC_VGPRS)
	s_endpgm
	.section	.rodata,"a",@progbits
	.p2align	6, 0x0
	.amdhsa_kernel _Z20shuffle_index_kernelILj64E6__halfEvPT0_Pi
		.amdhsa_group_segment_fixed_size 0
		.amdhsa_private_segment_fixed_size 0
		.amdhsa_kernarg_size 272
		.amdhsa_user_sgpr_count 15
		.amdhsa_user_sgpr_dispatch_ptr 0
		.amdhsa_user_sgpr_queue_ptr 0
		.amdhsa_user_sgpr_kernarg_segment_ptr 1
		.amdhsa_user_sgpr_dispatch_id 0
		.amdhsa_user_sgpr_private_segment_size 0
		.amdhsa_wavefront_size32 1
		.amdhsa_uses_dynamic_stack 0
		.amdhsa_enable_private_segment 0
		.amdhsa_system_sgpr_workgroup_id_x 1
		.amdhsa_system_sgpr_workgroup_id_y 0
		.amdhsa_system_sgpr_workgroup_id_z 0
		.amdhsa_system_sgpr_workgroup_info 0
		.amdhsa_system_vgpr_workitem_id 0
		.amdhsa_next_free_vgpr 4
		.amdhsa_next_free_sgpr 16
		.amdhsa_reserve_vcc 1
		.amdhsa_float_round_mode_32 0
		.amdhsa_float_round_mode_16_64 0
		.amdhsa_float_denorm_mode_32 3
		.amdhsa_float_denorm_mode_16_64 3
		.amdhsa_dx10_clamp 1
		.amdhsa_ieee_mode 1
		.amdhsa_fp16_overflow 0
		.amdhsa_workgroup_processor_mode 1
		.amdhsa_memory_ordered 1
		.amdhsa_forward_progress 0
		.amdhsa_shared_vgpr_count 0
		.amdhsa_exception_fp_ieee_invalid_op 0
		.amdhsa_exception_fp_denorm_src 0
		.amdhsa_exception_fp_ieee_div_zero 0
		.amdhsa_exception_fp_ieee_overflow 0
		.amdhsa_exception_fp_ieee_underflow 0
		.amdhsa_exception_fp_ieee_inexact 0
		.amdhsa_exception_int_div_zero 0
	.end_amdhsa_kernel
	.section	.text._Z20shuffle_index_kernelILj64E6__halfEvPT0_Pi,"axG",@progbits,_Z20shuffle_index_kernelILj64E6__halfEvPT0_Pi,comdat
.Lfunc_end32:
	.size	_Z20shuffle_index_kernelILj64E6__halfEvPT0_Pi, .Lfunc_end32-_Z20shuffle_index_kernelILj64E6__halfEvPT0_Pi
                                        ; -- End function
	.section	.AMDGPU.csdata,"",@progbits
; Kernel info:
; codeLenInByte = 148
; NumSgprs: 18
; NumVgprs: 4
; ScratchSize: 0
; MemoryBound: 0
; FloatMode: 240
; IeeeMode: 1
; LDSByteSize: 0 bytes/workgroup (compile time only)
; SGPRBlocks: 2
; VGPRBlocks: 0
; NumSGPRsForWavesPerEU: 18
; NumVGPRsForWavesPerEU: 4
; Occupancy: 16
; WaveLimiterHint : 0
; COMPUTE_PGM_RSRC2:SCRATCH_EN: 0
; COMPUTE_PGM_RSRC2:USER_SGPR: 15
; COMPUTE_PGM_RSRC2:TRAP_HANDLER: 0
; COMPUTE_PGM_RSRC2:TGID_X_EN: 1
; COMPUTE_PGM_RSRC2:TGID_Y_EN: 0
; COMPUTE_PGM_RSRC2:TGID_Z_EN: 0
; COMPUTE_PGM_RSRC2:TIDIG_COMP_CNT: 0
	.section	.text._Z20shuffle_index_kernelILj64EhEvPT0_Pi,"axG",@progbits,_Z20shuffle_index_kernelILj64EhEvPT0_Pi,comdat
	.protected	_Z20shuffle_index_kernelILj64EhEvPT0_Pi ; -- Begin function _Z20shuffle_index_kernelILj64EhEvPT0_Pi
	.globl	_Z20shuffle_index_kernelILj64EhEvPT0_Pi
	.p2align	8
	.type	_Z20shuffle_index_kernelILj64EhEvPT0_Pi,@function
_Z20shuffle_index_kernelILj64EhEvPT0_Pi: ; @_Z20shuffle_index_kernelILj64EhEvPT0_Pi
; %bb.0:
	s_clause 0x1
	s_load_b32 s4, s[0:1], 0x1c
	s_load_b128 s[0:3], s[0:1], 0x0
	v_lshrrev_b32_e32 v1, 4, v0
	s_delay_alu instid0(VALU_DEP_1)
	v_and_b32_e32 v1, 60, v1
	s_waitcnt lgkmcnt(0)
	s_and_b32 s4, s4, 0xffff
	global_load_b32 v3, v1, s[2:3]
	v_mad_u64_u32 v[1:2], null, s15, s4, v[0:1]
	global_load_u8 v0, v1, s[0:1]
	s_waitcnt vmcnt(1)
	v_and_b32_e32 v2, 63, v3
	s_delay_alu instid0(VALU_DEP_1)
	v_lshlrev_b32_e32 v2, 2, v2
	s_waitcnt vmcnt(0)
	ds_bpermute_b32 v0, v2, v0
	s_waitcnt lgkmcnt(0)
	global_store_b8 v1, v0, s[0:1]
	s_nop 0
	s_sendmsg sendmsg(MSG_DEALLOC_VGPRS)
	s_endpgm
	.section	.rodata,"a",@progbits
	.p2align	6, 0x0
	.amdhsa_kernel _Z20shuffle_index_kernelILj64EhEvPT0_Pi
		.amdhsa_group_segment_fixed_size 0
		.amdhsa_private_segment_fixed_size 0
		.amdhsa_kernarg_size 272
		.amdhsa_user_sgpr_count 15
		.amdhsa_user_sgpr_dispatch_ptr 0
		.amdhsa_user_sgpr_queue_ptr 0
		.amdhsa_user_sgpr_kernarg_segment_ptr 1
		.amdhsa_user_sgpr_dispatch_id 0
		.amdhsa_user_sgpr_private_segment_size 0
		.amdhsa_wavefront_size32 1
		.amdhsa_uses_dynamic_stack 0
		.amdhsa_enable_private_segment 0
		.amdhsa_system_sgpr_workgroup_id_x 1
		.amdhsa_system_sgpr_workgroup_id_y 0
		.amdhsa_system_sgpr_workgroup_id_z 0
		.amdhsa_system_sgpr_workgroup_info 0
		.amdhsa_system_vgpr_workitem_id 0
		.amdhsa_next_free_vgpr 4
		.amdhsa_next_free_sgpr 16
		.amdhsa_reserve_vcc 0
		.amdhsa_float_round_mode_32 0
		.amdhsa_float_round_mode_16_64 0
		.amdhsa_float_denorm_mode_32 3
		.amdhsa_float_denorm_mode_16_64 3
		.amdhsa_dx10_clamp 1
		.amdhsa_ieee_mode 1
		.amdhsa_fp16_overflow 0
		.amdhsa_workgroup_processor_mode 1
		.amdhsa_memory_ordered 1
		.amdhsa_forward_progress 0
		.amdhsa_shared_vgpr_count 0
		.amdhsa_exception_fp_ieee_invalid_op 0
		.amdhsa_exception_fp_denorm_src 0
		.amdhsa_exception_fp_ieee_div_zero 0
		.amdhsa_exception_fp_ieee_overflow 0
		.amdhsa_exception_fp_ieee_underflow 0
		.amdhsa_exception_fp_ieee_inexact 0
		.amdhsa_exception_int_div_zero 0
	.end_amdhsa_kernel
	.section	.text._Z20shuffle_index_kernelILj64EhEvPT0_Pi,"axG",@progbits,_Z20shuffle_index_kernelILj64EhEvPT0_Pi,comdat
.Lfunc_end33:
	.size	_Z20shuffle_index_kernelILj64EhEvPT0_Pi, .Lfunc_end33-_Z20shuffle_index_kernelILj64EhEvPT0_Pi
                                        ; -- End function
	.section	.AMDGPU.csdata,"",@progbits
; Kernel info:
; codeLenInByte = 120
; NumSgprs: 16
; NumVgprs: 4
; ScratchSize: 0
; MemoryBound: 0
; FloatMode: 240
; IeeeMode: 1
; LDSByteSize: 0 bytes/workgroup (compile time only)
; SGPRBlocks: 1
; VGPRBlocks: 0
; NumSGPRsForWavesPerEU: 16
; NumVGPRsForWavesPerEU: 4
; Occupancy: 16
; WaveLimiterHint : 0
; COMPUTE_PGM_RSRC2:SCRATCH_EN: 0
; COMPUTE_PGM_RSRC2:USER_SGPR: 15
; COMPUTE_PGM_RSRC2:TRAP_HANDLER: 0
; COMPUTE_PGM_RSRC2:TGID_X_EN: 1
; COMPUTE_PGM_RSRC2:TGID_Y_EN: 0
; COMPUTE_PGM_RSRC2:TGID_Z_EN: 0
; COMPUTE_PGM_RSRC2:TIDIG_COMP_CNT: 0
	.section	.text._Z20shuffle_index_kernelILj64EdEvPT0_Pi,"axG",@progbits,_Z20shuffle_index_kernelILj64EdEvPT0_Pi,comdat
	.protected	_Z20shuffle_index_kernelILj64EdEvPT0_Pi ; -- Begin function _Z20shuffle_index_kernelILj64EdEvPT0_Pi
	.globl	_Z20shuffle_index_kernelILj64EdEvPT0_Pi
	.p2align	8
	.type	_Z20shuffle_index_kernelILj64EdEvPT0_Pi,@function
_Z20shuffle_index_kernelILj64EdEvPT0_Pi: ; @_Z20shuffle_index_kernelILj64EdEvPT0_Pi
; %bb.0:
	s_clause 0x1
	s_load_b32 s4, s[0:1], 0x1c
	s_load_b128 s[0:3], s[0:1], 0x0
	s_waitcnt lgkmcnt(0)
	s_and_b32 s4, s4, 0xffff
	s_delay_alu instid0(SALU_CYCLE_1) | instskip(SKIP_1) | instid1(VALU_DEP_1)
	v_mad_u64_u32 v[1:2], null, s15, s4, v[0:1]
	v_lshrrev_b32_e32 v0, 4, v0
	v_dual_mov_b32 v2, 0 :: v_dual_and_b32 v3, 60, v0
	s_delay_alu instid0(VALU_DEP_1)
	v_lshlrev_b64 v[0:1], 3, v[1:2]
	global_load_b32 v4, v3, s[2:3]
	v_add_co_u32 v0, vcc_lo, s0, v0
	v_add_co_ci_u32_e32 v1, vcc_lo, s1, v1, vcc_lo
	global_load_b64 v[2:3], v[0:1], off
	s_waitcnt vmcnt(1)
	v_and_b32_e32 v4, 63, v4
	s_delay_alu instid0(VALU_DEP_1)
	v_lshlrev_b32_e32 v4, 2, v4
	s_waitcnt vmcnt(0)
	ds_bpermute_b32 v2, v4, v2
	ds_bpermute_b32 v3, v4, v3
	s_waitcnt lgkmcnt(0)
	global_store_b64 v[0:1], v[2:3], off
	s_nop 0
	s_sendmsg sendmsg(MSG_DEALLOC_VGPRS)
	s_endpgm
	.section	.rodata,"a",@progbits
	.p2align	6, 0x0
	.amdhsa_kernel _Z20shuffle_index_kernelILj64EdEvPT0_Pi
		.amdhsa_group_segment_fixed_size 0
		.amdhsa_private_segment_fixed_size 0
		.amdhsa_kernarg_size 272
		.amdhsa_user_sgpr_count 15
		.amdhsa_user_sgpr_dispatch_ptr 0
		.amdhsa_user_sgpr_queue_ptr 0
		.amdhsa_user_sgpr_kernarg_segment_ptr 1
		.amdhsa_user_sgpr_dispatch_id 0
		.amdhsa_user_sgpr_private_segment_size 0
		.amdhsa_wavefront_size32 1
		.amdhsa_uses_dynamic_stack 0
		.amdhsa_enable_private_segment 0
		.amdhsa_system_sgpr_workgroup_id_x 1
		.amdhsa_system_sgpr_workgroup_id_y 0
		.amdhsa_system_sgpr_workgroup_id_z 0
		.amdhsa_system_sgpr_workgroup_info 0
		.amdhsa_system_vgpr_workitem_id 0
		.amdhsa_next_free_vgpr 5
		.amdhsa_next_free_sgpr 16
		.amdhsa_reserve_vcc 1
		.amdhsa_float_round_mode_32 0
		.amdhsa_float_round_mode_16_64 0
		.amdhsa_float_denorm_mode_32 3
		.amdhsa_float_denorm_mode_16_64 3
		.amdhsa_dx10_clamp 1
		.amdhsa_ieee_mode 1
		.amdhsa_fp16_overflow 0
		.amdhsa_workgroup_processor_mode 1
		.amdhsa_memory_ordered 1
		.amdhsa_forward_progress 0
		.amdhsa_shared_vgpr_count 0
		.amdhsa_exception_fp_ieee_invalid_op 0
		.amdhsa_exception_fp_denorm_src 0
		.amdhsa_exception_fp_ieee_div_zero 0
		.amdhsa_exception_fp_ieee_overflow 0
		.amdhsa_exception_fp_ieee_underflow 0
		.amdhsa_exception_fp_ieee_inexact 0
		.amdhsa_exception_int_div_zero 0
	.end_amdhsa_kernel
	.section	.text._Z20shuffle_index_kernelILj64EdEvPT0_Pi,"axG",@progbits,_Z20shuffle_index_kernelILj64EdEvPT0_Pi,comdat
.Lfunc_end34:
	.size	_Z20shuffle_index_kernelILj64EdEvPT0_Pi, .Lfunc_end34-_Z20shuffle_index_kernelILj64EdEvPT0_Pi
                                        ; -- End function
	.section	.AMDGPU.csdata,"",@progbits
; Kernel info:
; codeLenInByte = 156
; NumSgprs: 18
; NumVgprs: 5
; ScratchSize: 0
; MemoryBound: 0
; FloatMode: 240
; IeeeMode: 1
; LDSByteSize: 0 bytes/workgroup (compile time only)
; SGPRBlocks: 2
; VGPRBlocks: 0
; NumSGPRsForWavesPerEU: 18
; NumVGPRsForWavesPerEU: 5
; Occupancy: 16
; WaveLimiterHint : 0
; COMPUTE_PGM_RSRC2:SCRATCH_EN: 0
; COMPUTE_PGM_RSRC2:USER_SGPR: 15
; COMPUTE_PGM_RSRC2:TRAP_HANDLER: 0
; COMPUTE_PGM_RSRC2:TGID_X_EN: 1
; COMPUTE_PGM_RSRC2:TGID_Y_EN: 0
; COMPUTE_PGM_RSRC2:TGID_Z_EN: 0
; COMPUTE_PGM_RSRC2:TIDIG_COMP_CNT: 0
	.section	.text._Z20shuffle_index_kernelILj64EfEvPT0_Pi,"axG",@progbits,_Z20shuffle_index_kernelILj64EfEvPT0_Pi,comdat
	.protected	_Z20shuffle_index_kernelILj64EfEvPT0_Pi ; -- Begin function _Z20shuffle_index_kernelILj64EfEvPT0_Pi
	.globl	_Z20shuffle_index_kernelILj64EfEvPT0_Pi
	.p2align	8
	.type	_Z20shuffle_index_kernelILj64EfEvPT0_Pi,@function
_Z20shuffle_index_kernelILj64EfEvPT0_Pi: ; @_Z20shuffle_index_kernelILj64EfEvPT0_Pi
; %bb.0:
	s_clause 0x1
	s_load_b32 s4, s[0:1], 0x1c
	s_load_b128 s[0:3], s[0:1], 0x0
	s_waitcnt lgkmcnt(0)
	s_and_b32 s4, s4, 0xffff
	s_delay_alu instid0(SALU_CYCLE_1) | instskip(SKIP_1) | instid1(VALU_DEP_1)
	v_mad_u64_u32 v[1:2], null, s15, s4, v[0:1]
	v_lshrrev_b32_e32 v0, 4, v0
	v_dual_mov_b32 v2, 0 :: v_dual_and_b32 v3, 60, v0
	s_delay_alu instid0(VALU_DEP_1)
	v_lshlrev_b64 v[0:1], 2, v[1:2]
	global_load_b32 v2, v3, s[2:3]
	v_add_co_u32 v0, vcc_lo, s0, v0
	v_add_co_ci_u32_e32 v1, vcc_lo, s1, v1, vcc_lo
	global_load_b32 v3, v[0:1], off
	s_waitcnt vmcnt(1)
	v_and_b32_e32 v2, 63, v2
	s_delay_alu instid0(VALU_DEP_1)
	v_lshlrev_b32_e32 v2, 2, v2
	s_waitcnt vmcnt(0)
	ds_bpermute_b32 v2, v2, v3
	s_waitcnt lgkmcnt(0)
	global_store_b32 v[0:1], v2, off
	s_nop 0
	s_sendmsg sendmsg(MSG_DEALLOC_VGPRS)
	s_endpgm
	.section	.rodata,"a",@progbits
	.p2align	6, 0x0
	.amdhsa_kernel _Z20shuffle_index_kernelILj64EfEvPT0_Pi
		.amdhsa_group_segment_fixed_size 0
		.amdhsa_private_segment_fixed_size 0
		.amdhsa_kernarg_size 272
		.amdhsa_user_sgpr_count 15
		.amdhsa_user_sgpr_dispatch_ptr 0
		.amdhsa_user_sgpr_queue_ptr 0
		.amdhsa_user_sgpr_kernarg_segment_ptr 1
		.amdhsa_user_sgpr_dispatch_id 0
		.amdhsa_user_sgpr_private_segment_size 0
		.amdhsa_wavefront_size32 1
		.amdhsa_uses_dynamic_stack 0
		.amdhsa_enable_private_segment 0
		.amdhsa_system_sgpr_workgroup_id_x 1
		.amdhsa_system_sgpr_workgroup_id_y 0
		.amdhsa_system_sgpr_workgroup_id_z 0
		.amdhsa_system_sgpr_workgroup_info 0
		.amdhsa_system_vgpr_workitem_id 0
		.amdhsa_next_free_vgpr 4
		.amdhsa_next_free_sgpr 16
		.amdhsa_reserve_vcc 1
		.amdhsa_float_round_mode_32 0
		.amdhsa_float_round_mode_16_64 0
		.amdhsa_float_denorm_mode_32 3
		.amdhsa_float_denorm_mode_16_64 3
		.amdhsa_dx10_clamp 1
		.amdhsa_ieee_mode 1
		.amdhsa_fp16_overflow 0
		.amdhsa_workgroup_processor_mode 1
		.amdhsa_memory_ordered 1
		.amdhsa_forward_progress 0
		.amdhsa_shared_vgpr_count 0
		.amdhsa_exception_fp_ieee_invalid_op 0
		.amdhsa_exception_fp_denorm_src 0
		.amdhsa_exception_fp_ieee_div_zero 0
		.amdhsa_exception_fp_ieee_overflow 0
		.amdhsa_exception_fp_ieee_underflow 0
		.amdhsa_exception_fp_ieee_inexact 0
		.amdhsa_exception_int_div_zero 0
	.end_amdhsa_kernel
	.section	.text._Z20shuffle_index_kernelILj64EfEvPT0_Pi,"axG",@progbits,_Z20shuffle_index_kernelILj64EfEvPT0_Pi,comdat
.Lfunc_end35:
	.size	_Z20shuffle_index_kernelILj64EfEvPT0_Pi, .Lfunc_end35-_Z20shuffle_index_kernelILj64EfEvPT0_Pi
                                        ; -- End function
	.section	.AMDGPU.csdata,"",@progbits
; Kernel info:
; codeLenInByte = 148
; NumSgprs: 18
; NumVgprs: 4
; ScratchSize: 0
; MemoryBound: 0
; FloatMode: 240
; IeeeMode: 1
; LDSByteSize: 0 bytes/workgroup (compile time only)
; SGPRBlocks: 2
; VGPRBlocks: 0
; NumSGPRsForWavesPerEU: 18
; NumVGPRsForWavesPerEU: 4
; Occupancy: 16
; WaveLimiterHint : 0
; COMPUTE_PGM_RSRC2:SCRATCH_EN: 0
; COMPUTE_PGM_RSRC2:USER_SGPR: 15
; COMPUTE_PGM_RSRC2:TRAP_HANDLER: 0
; COMPUTE_PGM_RSRC2:TGID_X_EN: 1
; COMPUTE_PGM_RSRC2:TGID_Y_EN: 0
; COMPUTE_PGM_RSRC2:TGID_Z_EN: 0
; COMPUTE_PGM_RSRC2:TIDIG_COMP_CNT: 0
	.section	.text._Z20shuffle_index_kernelILj32EhEvPT0_Pi,"axG",@progbits,_Z20shuffle_index_kernelILj32EhEvPT0_Pi,comdat
	.protected	_Z20shuffle_index_kernelILj32EhEvPT0_Pi ; -- Begin function _Z20shuffle_index_kernelILj32EhEvPT0_Pi
	.globl	_Z20shuffle_index_kernelILj32EhEvPT0_Pi
	.p2align	8
	.type	_Z20shuffle_index_kernelILj32EhEvPT0_Pi,@function
_Z20shuffle_index_kernelILj32EhEvPT0_Pi: ; @_Z20shuffle_index_kernelILj32EhEvPT0_Pi
; %bb.0:
	s_clause 0x1
	s_load_b32 s4, s[0:1], 0x1c
	s_load_b128 s[0:3], s[0:1], 0x0
	v_lshrrev_b32_e32 v1, 3, v0
	s_delay_alu instid0(VALU_DEP_1)
	v_and_b32_e32 v1, 0x7c, v1
	s_waitcnt lgkmcnt(0)
	s_and_b32 s4, s4, 0xffff
	global_load_b32 v3, v1, s[2:3]
	v_mad_u64_u32 v[1:2], null, s15, s4, v[0:1]
	global_load_u8 v0, v1, s[0:1]
	s_waitcnt vmcnt(1)
	v_and_b32_e32 v2, 31, v3
	s_delay_alu instid0(VALU_DEP_1)
	v_lshlrev_b32_e32 v2, 2, v2
	s_waitcnt vmcnt(0)
	ds_bpermute_b32 v0, v2, v0
	s_waitcnt lgkmcnt(0)
	global_store_b8 v1, v0, s[0:1]
	s_nop 0
	s_sendmsg sendmsg(MSG_DEALLOC_VGPRS)
	s_endpgm
	.section	.rodata,"a",@progbits
	.p2align	6, 0x0
	.amdhsa_kernel _Z20shuffle_index_kernelILj32EhEvPT0_Pi
		.amdhsa_group_segment_fixed_size 0
		.amdhsa_private_segment_fixed_size 0
		.amdhsa_kernarg_size 272
		.amdhsa_user_sgpr_count 15
		.amdhsa_user_sgpr_dispatch_ptr 0
		.amdhsa_user_sgpr_queue_ptr 0
		.amdhsa_user_sgpr_kernarg_segment_ptr 1
		.amdhsa_user_sgpr_dispatch_id 0
		.amdhsa_user_sgpr_private_segment_size 0
		.amdhsa_wavefront_size32 1
		.amdhsa_uses_dynamic_stack 0
		.amdhsa_enable_private_segment 0
		.amdhsa_system_sgpr_workgroup_id_x 1
		.amdhsa_system_sgpr_workgroup_id_y 0
		.amdhsa_system_sgpr_workgroup_id_z 0
		.amdhsa_system_sgpr_workgroup_info 0
		.amdhsa_system_vgpr_workitem_id 0
		.amdhsa_next_free_vgpr 4
		.amdhsa_next_free_sgpr 16
		.amdhsa_reserve_vcc 0
		.amdhsa_float_round_mode_32 0
		.amdhsa_float_round_mode_16_64 0
		.amdhsa_float_denorm_mode_32 3
		.amdhsa_float_denorm_mode_16_64 3
		.amdhsa_dx10_clamp 1
		.amdhsa_ieee_mode 1
		.amdhsa_fp16_overflow 0
		.amdhsa_workgroup_processor_mode 1
		.amdhsa_memory_ordered 1
		.amdhsa_forward_progress 0
		.amdhsa_shared_vgpr_count 0
		.amdhsa_exception_fp_ieee_invalid_op 0
		.amdhsa_exception_fp_denorm_src 0
		.amdhsa_exception_fp_ieee_div_zero 0
		.amdhsa_exception_fp_ieee_overflow 0
		.amdhsa_exception_fp_ieee_underflow 0
		.amdhsa_exception_fp_ieee_inexact 0
		.amdhsa_exception_int_div_zero 0
	.end_amdhsa_kernel
	.section	.text._Z20shuffle_index_kernelILj32EhEvPT0_Pi,"axG",@progbits,_Z20shuffle_index_kernelILj32EhEvPT0_Pi,comdat
.Lfunc_end36:
	.size	_Z20shuffle_index_kernelILj32EhEvPT0_Pi, .Lfunc_end36-_Z20shuffle_index_kernelILj32EhEvPT0_Pi
                                        ; -- End function
	.section	.AMDGPU.csdata,"",@progbits
; Kernel info:
; codeLenInByte = 124
; NumSgprs: 16
; NumVgprs: 4
; ScratchSize: 0
; MemoryBound: 0
; FloatMode: 240
; IeeeMode: 1
; LDSByteSize: 0 bytes/workgroup (compile time only)
; SGPRBlocks: 1
; VGPRBlocks: 0
; NumSGPRsForWavesPerEU: 16
; NumVGPRsForWavesPerEU: 4
; Occupancy: 16
; WaveLimiterHint : 0
; COMPUTE_PGM_RSRC2:SCRATCH_EN: 0
; COMPUTE_PGM_RSRC2:USER_SGPR: 15
; COMPUTE_PGM_RSRC2:TRAP_HANDLER: 0
; COMPUTE_PGM_RSRC2:TGID_X_EN: 1
; COMPUTE_PGM_RSRC2:TGID_Y_EN: 0
; COMPUTE_PGM_RSRC2:TGID_Z_EN: 0
; COMPUTE_PGM_RSRC2:TIDIG_COMP_CNT: 0
	.section	.text._Z20shuffle_index_kernelILj32E12hip_bfloat16EvPT0_Pi,"axG",@progbits,_Z20shuffle_index_kernelILj32E12hip_bfloat16EvPT0_Pi,comdat
	.protected	_Z20shuffle_index_kernelILj32E12hip_bfloat16EvPT0_Pi ; -- Begin function _Z20shuffle_index_kernelILj32E12hip_bfloat16EvPT0_Pi
	.globl	_Z20shuffle_index_kernelILj32E12hip_bfloat16EvPT0_Pi
	.p2align	8
	.type	_Z20shuffle_index_kernelILj32E12hip_bfloat16EvPT0_Pi,@function
_Z20shuffle_index_kernelILj32E12hip_bfloat16EvPT0_Pi: ; @_Z20shuffle_index_kernelILj32E12hip_bfloat16EvPT0_Pi
; %bb.0:
	s_clause 0x1
	s_load_b32 s4, s[0:1], 0x1c
	s_load_b128 s[0:3], s[0:1], 0x0
	s_waitcnt lgkmcnt(0)
	s_and_b32 s4, s4, 0xffff
	s_delay_alu instid0(SALU_CYCLE_1) | instskip(SKIP_1) | instid1(VALU_DEP_1)
	v_mad_u64_u32 v[1:2], null, s15, s4, v[0:1]
	v_lshrrev_b32_e32 v0, 3, v0
	v_dual_mov_b32 v2, 0 :: v_dual_and_b32 v3, 0x7c, v0
	s_delay_alu instid0(VALU_DEP_1)
	v_lshlrev_b64 v[0:1], 1, v[1:2]
	global_load_b32 v2, v3, s[2:3]
	v_add_co_u32 v0, vcc_lo, s0, v0
	v_add_co_ci_u32_e32 v1, vcc_lo, s1, v1, vcc_lo
	global_load_u16 v3, v[0:1], off
	s_waitcnt vmcnt(1)
	v_and_b32_e32 v2, 31, v2
	s_delay_alu instid0(VALU_DEP_1)
	v_lshlrev_b32_e32 v2, 2, v2
	s_waitcnt vmcnt(0)
	ds_bpermute_b32 v2, v2, v3
	s_waitcnt lgkmcnt(0)
	global_store_b16 v[0:1], v2, off
	s_nop 0
	s_sendmsg sendmsg(MSG_DEALLOC_VGPRS)
	s_endpgm
	.section	.rodata,"a",@progbits
	.p2align	6, 0x0
	.amdhsa_kernel _Z20shuffle_index_kernelILj32E12hip_bfloat16EvPT0_Pi
		.amdhsa_group_segment_fixed_size 0
		.amdhsa_private_segment_fixed_size 0
		.amdhsa_kernarg_size 272
		.amdhsa_user_sgpr_count 15
		.amdhsa_user_sgpr_dispatch_ptr 0
		.amdhsa_user_sgpr_queue_ptr 0
		.amdhsa_user_sgpr_kernarg_segment_ptr 1
		.amdhsa_user_sgpr_dispatch_id 0
		.amdhsa_user_sgpr_private_segment_size 0
		.amdhsa_wavefront_size32 1
		.amdhsa_uses_dynamic_stack 0
		.amdhsa_enable_private_segment 0
		.amdhsa_system_sgpr_workgroup_id_x 1
		.amdhsa_system_sgpr_workgroup_id_y 0
		.amdhsa_system_sgpr_workgroup_id_z 0
		.amdhsa_system_sgpr_workgroup_info 0
		.amdhsa_system_vgpr_workitem_id 0
		.amdhsa_next_free_vgpr 4
		.amdhsa_next_free_sgpr 16
		.amdhsa_reserve_vcc 1
		.amdhsa_float_round_mode_32 0
		.amdhsa_float_round_mode_16_64 0
		.amdhsa_float_denorm_mode_32 3
		.amdhsa_float_denorm_mode_16_64 3
		.amdhsa_dx10_clamp 1
		.amdhsa_ieee_mode 1
		.amdhsa_fp16_overflow 0
		.amdhsa_workgroup_processor_mode 1
		.amdhsa_memory_ordered 1
		.amdhsa_forward_progress 0
		.amdhsa_shared_vgpr_count 0
		.amdhsa_exception_fp_ieee_invalid_op 0
		.amdhsa_exception_fp_denorm_src 0
		.amdhsa_exception_fp_ieee_div_zero 0
		.amdhsa_exception_fp_ieee_overflow 0
		.amdhsa_exception_fp_ieee_underflow 0
		.amdhsa_exception_fp_ieee_inexact 0
		.amdhsa_exception_int_div_zero 0
	.end_amdhsa_kernel
	.section	.text._Z20shuffle_index_kernelILj32E12hip_bfloat16EvPT0_Pi,"axG",@progbits,_Z20shuffle_index_kernelILj32E12hip_bfloat16EvPT0_Pi,comdat
.Lfunc_end37:
	.size	_Z20shuffle_index_kernelILj32E12hip_bfloat16EvPT0_Pi, .Lfunc_end37-_Z20shuffle_index_kernelILj32E12hip_bfloat16EvPT0_Pi
                                        ; -- End function
	.section	.AMDGPU.csdata,"",@progbits
; Kernel info:
; codeLenInByte = 152
; NumSgprs: 18
; NumVgprs: 4
; ScratchSize: 0
; MemoryBound: 0
; FloatMode: 240
; IeeeMode: 1
; LDSByteSize: 0 bytes/workgroup (compile time only)
; SGPRBlocks: 2
; VGPRBlocks: 0
; NumSGPRsForWavesPerEU: 18
; NumVGPRsForWavesPerEU: 4
; Occupancy: 16
; WaveLimiterHint : 0
; COMPUTE_PGM_RSRC2:SCRATCH_EN: 0
; COMPUTE_PGM_RSRC2:USER_SGPR: 15
; COMPUTE_PGM_RSRC2:TRAP_HANDLER: 0
; COMPUTE_PGM_RSRC2:TGID_X_EN: 1
; COMPUTE_PGM_RSRC2:TGID_Y_EN: 0
; COMPUTE_PGM_RSRC2:TGID_Z_EN: 0
; COMPUTE_PGM_RSRC2:TIDIG_COMP_CNT: 0
	.section	.text._Z20shuffle_index_kernelILj32E6__halfEvPT0_Pi,"axG",@progbits,_Z20shuffle_index_kernelILj32E6__halfEvPT0_Pi,comdat
	.protected	_Z20shuffle_index_kernelILj32E6__halfEvPT0_Pi ; -- Begin function _Z20shuffle_index_kernelILj32E6__halfEvPT0_Pi
	.globl	_Z20shuffle_index_kernelILj32E6__halfEvPT0_Pi
	.p2align	8
	.type	_Z20shuffle_index_kernelILj32E6__halfEvPT0_Pi,@function
_Z20shuffle_index_kernelILj32E6__halfEvPT0_Pi: ; @_Z20shuffle_index_kernelILj32E6__halfEvPT0_Pi
; %bb.0:
	s_clause 0x1
	s_load_b32 s4, s[0:1], 0x1c
	s_load_b128 s[0:3], s[0:1], 0x0
	s_waitcnt lgkmcnt(0)
	s_and_b32 s4, s4, 0xffff
	s_delay_alu instid0(SALU_CYCLE_1) | instskip(SKIP_1) | instid1(VALU_DEP_1)
	v_mad_u64_u32 v[1:2], null, s15, s4, v[0:1]
	v_lshrrev_b32_e32 v0, 3, v0
	v_dual_mov_b32 v2, 0 :: v_dual_and_b32 v3, 0x7c, v0
	s_delay_alu instid0(VALU_DEP_1)
	v_lshlrev_b64 v[0:1], 1, v[1:2]
	global_load_b32 v2, v3, s[2:3]
	v_add_co_u32 v0, vcc_lo, s0, v0
	v_add_co_ci_u32_e32 v1, vcc_lo, s1, v1, vcc_lo
	global_load_u16 v3, v[0:1], off
	s_waitcnt vmcnt(1)
	v_and_b32_e32 v2, 31, v2
	s_delay_alu instid0(VALU_DEP_1)
	v_lshlrev_b32_e32 v2, 2, v2
	s_waitcnt vmcnt(0)
	ds_bpermute_b32 v2, v2, v3
	s_waitcnt lgkmcnt(0)
	global_store_b16 v[0:1], v2, off
	s_nop 0
	s_sendmsg sendmsg(MSG_DEALLOC_VGPRS)
	s_endpgm
	.section	.rodata,"a",@progbits
	.p2align	6, 0x0
	.amdhsa_kernel _Z20shuffle_index_kernelILj32E6__halfEvPT0_Pi
		.amdhsa_group_segment_fixed_size 0
		.amdhsa_private_segment_fixed_size 0
		.amdhsa_kernarg_size 272
		.amdhsa_user_sgpr_count 15
		.amdhsa_user_sgpr_dispatch_ptr 0
		.amdhsa_user_sgpr_queue_ptr 0
		.amdhsa_user_sgpr_kernarg_segment_ptr 1
		.amdhsa_user_sgpr_dispatch_id 0
		.amdhsa_user_sgpr_private_segment_size 0
		.amdhsa_wavefront_size32 1
		.amdhsa_uses_dynamic_stack 0
		.amdhsa_enable_private_segment 0
		.amdhsa_system_sgpr_workgroup_id_x 1
		.amdhsa_system_sgpr_workgroup_id_y 0
		.amdhsa_system_sgpr_workgroup_id_z 0
		.amdhsa_system_sgpr_workgroup_info 0
		.amdhsa_system_vgpr_workitem_id 0
		.amdhsa_next_free_vgpr 4
		.amdhsa_next_free_sgpr 16
		.amdhsa_reserve_vcc 1
		.amdhsa_float_round_mode_32 0
		.amdhsa_float_round_mode_16_64 0
		.amdhsa_float_denorm_mode_32 3
		.amdhsa_float_denorm_mode_16_64 3
		.amdhsa_dx10_clamp 1
		.amdhsa_ieee_mode 1
		.amdhsa_fp16_overflow 0
		.amdhsa_workgroup_processor_mode 1
		.amdhsa_memory_ordered 1
		.amdhsa_forward_progress 0
		.amdhsa_shared_vgpr_count 0
		.amdhsa_exception_fp_ieee_invalid_op 0
		.amdhsa_exception_fp_denorm_src 0
		.amdhsa_exception_fp_ieee_div_zero 0
		.amdhsa_exception_fp_ieee_overflow 0
		.amdhsa_exception_fp_ieee_underflow 0
		.amdhsa_exception_fp_ieee_inexact 0
		.amdhsa_exception_int_div_zero 0
	.end_amdhsa_kernel
	.section	.text._Z20shuffle_index_kernelILj32E6__halfEvPT0_Pi,"axG",@progbits,_Z20shuffle_index_kernelILj32E6__halfEvPT0_Pi,comdat
.Lfunc_end38:
	.size	_Z20shuffle_index_kernelILj32E6__halfEvPT0_Pi, .Lfunc_end38-_Z20shuffle_index_kernelILj32E6__halfEvPT0_Pi
                                        ; -- End function
	.section	.AMDGPU.csdata,"",@progbits
; Kernel info:
; codeLenInByte = 152
; NumSgprs: 18
; NumVgprs: 4
; ScratchSize: 0
; MemoryBound: 0
; FloatMode: 240
; IeeeMode: 1
; LDSByteSize: 0 bytes/workgroup (compile time only)
; SGPRBlocks: 2
; VGPRBlocks: 0
; NumSGPRsForWavesPerEU: 18
; NumVGPRsForWavesPerEU: 4
; Occupancy: 16
; WaveLimiterHint : 0
; COMPUTE_PGM_RSRC2:SCRATCH_EN: 0
; COMPUTE_PGM_RSRC2:USER_SGPR: 15
; COMPUTE_PGM_RSRC2:TRAP_HANDLER: 0
; COMPUTE_PGM_RSRC2:TGID_X_EN: 1
; COMPUTE_PGM_RSRC2:TGID_Y_EN: 0
; COMPUTE_PGM_RSRC2:TGID_Z_EN: 0
; COMPUTE_PGM_RSRC2:TIDIG_COMP_CNT: 0
	.section	.text._Z20shuffle_index_kernelILj32EdEvPT0_Pi,"axG",@progbits,_Z20shuffle_index_kernelILj32EdEvPT0_Pi,comdat
	.protected	_Z20shuffle_index_kernelILj32EdEvPT0_Pi ; -- Begin function _Z20shuffle_index_kernelILj32EdEvPT0_Pi
	.globl	_Z20shuffle_index_kernelILj32EdEvPT0_Pi
	.p2align	8
	.type	_Z20shuffle_index_kernelILj32EdEvPT0_Pi,@function
_Z20shuffle_index_kernelILj32EdEvPT0_Pi: ; @_Z20shuffle_index_kernelILj32EdEvPT0_Pi
; %bb.0:
	s_clause 0x1
	s_load_b32 s4, s[0:1], 0x1c
	s_load_b128 s[0:3], s[0:1], 0x0
	s_waitcnt lgkmcnt(0)
	s_and_b32 s4, s4, 0xffff
	s_delay_alu instid0(SALU_CYCLE_1) | instskip(SKIP_1) | instid1(VALU_DEP_1)
	v_mad_u64_u32 v[1:2], null, s15, s4, v[0:1]
	v_lshrrev_b32_e32 v0, 3, v0
	v_dual_mov_b32 v2, 0 :: v_dual_and_b32 v3, 0x7c, v0
	s_delay_alu instid0(VALU_DEP_1)
	v_lshlrev_b64 v[0:1], 3, v[1:2]
	global_load_b32 v4, v3, s[2:3]
	v_add_co_u32 v0, vcc_lo, s0, v0
	v_add_co_ci_u32_e32 v1, vcc_lo, s1, v1, vcc_lo
	global_load_b64 v[2:3], v[0:1], off
	s_waitcnt vmcnt(1)
	v_and_b32_e32 v4, 31, v4
	s_delay_alu instid0(VALU_DEP_1)
	v_lshlrev_b32_e32 v4, 2, v4
	s_waitcnt vmcnt(0)
	ds_bpermute_b32 v2, v4, v2
	ds_bpermute_b32 v3, v4, v3
	s_waitcnt lgkmcnt(0)
	global_store_b64 v[0:1], v[2:3], off
	s_nop 0
	s_sendmsg sendmsg(MSG_DEALLOC_VGPRS)
	s_endpgm
	.section	.rodata,"a",@progbits
	.p2align	6, 0x0
	.amdhsa_kernel _Z20shuffle_index_kernelILj32EdEvPT0_Pi
		.amdhsa_group_segment_fixed_size 0
		.amdhsa_private_segment_fixed_size 0
		.amdhsa_kernarg_size 272
		.amdhsa_user_sgpr_count 15
		.amdhsa_user_sgpr_dispatch_ptr 0
		.amdhsa_user_sgpr_queue_ptr 0
		.amdhsa_user_sgpr_kernarg_segment_ptr 1
		.amdhsa_user_sgpr_dispatch_id 0
		.amdhsa_user_sgpr_private_segment_size 0
		.amdhsa_wavefront_size32 1
		.amdhsa_uses_dynamic_stack 0
		.amdhsa_enable_private_segment 0
		.amdhsa_system_sgpr_workgroup_id_x 1
		.amdhsa_system_sgpr_workgroup_id_y 0
		.amdhsa_system_sgpr_workgroup_id_z 0
		.amdhsa_system_sgpr_workgroup_info 0
		.amdhsa_system_vgpr_workitem_id 0
		.amdhsa_next_free_vgpr 5
		.amdhsa_next_free_sgpr 16
		.amdhsa_reserve_vcc 1
		.amdhsa_float_round_mode_32 0
		.amdhsa_float_round_mode_16_64 0
		.amdhsa_float_denorm_mode_32 3
		.amdhsa_float_denorm_mode_16_64 3
		.amdhsa_dx10_clamp 1
		.amdhsa_ieee_mode 1
		.amdhsa_fp16_overflow 0
		.amdhsa_workgroup_processor_mode 1
		.amdhsa_memory_ordered 1
		.amdhsa_forward_progress 0
		.amdhsa_shared_vgpr_count 0
		.amdhsa_exception_fp_ieee_invalid_op 0
		.amdhsa_exception_fp_denorm_src 0
		.amdhsa_exception_fp_ieee_div_zero 0
		.amdhsa_exception_fp_ieee_overflow 0
		.amdhsa_exception_fp_ieee_underflow 0
		.amdhsa_exception_fp_ieee_inexact 0
		.amdhsa_exception_int_div_zero 0
	.end_amdhsa_kernel
	.section	.text._Z20shuffle_index_kernelILj32EdEvPT0_Pi,"axG",@progbits,_Z20shuffle_index_kernelILj32EdEvPT0_Pi,comdat
.Lfunc_end39:
	.size	_Z20shuffle_index_kernelILj32EdEvPT0_Pi, .Lfunc_end39-_Z20shuffle_index_kernelILj32EdEvPT0_Pi
                                        ; -- End function
	.section	.AMDGPU.csdata,"",@progbits
; Kernel info:
; codeLenInByte = 160
; NumSgprs: 18
; NumVgprs: 5
; ScratchSize: 0
; MemoryBound: 0
; FloatMode: 240
; IeeeMode: 1
; LDSByteSize: 0 bytes/workgroup (compile time only)
; SGPRBlocks: 2
; VGPRBlocks: 0
; NumSGPRsForWavesPerEU: 18
; NumVGPRsForWavesPerEU: 5
; Occupancy: 16
; WaveLimiterHint : 0
; COMPUTE_PGM_RSRC2:SCRATCH_EN: 0
; COMPUTE_PGM_RSRC2:USER_SGPR: 15
; COMPUTE_PGM_RSRC2:TRAP_HANDLER: 0
; COMPUTE_PGM_RSRC2:TGID_X_EN: 1
; COMPUTE_PGM_RSRC2:TGID_Y_EN: 0
; COMPUTE_PGM_RSRC2:TGID_Z_EN: 0
; COMPUTE_PGM_RSRC2:TIDIG_COMP_CNT: 0
	.section	.text._Z20shuffle_index_kernelILj32EfEvPT0_Pi,"axG",@progbits,_Z20shuffle_index_kernelILj32EfEvPT0_Pi,comdat
	.protected	_Z20shuffle_index_kernelILj32EfEvPT0_Pi ; -- Begin function _Z20shuffle_index_kernelILj32EfEvPT0_Pi
	.globl	_Z20shuffle_index_kernelILj32EfEvPT0_Pi
	.p2align	8
	.type	_Z20shuffle_index_kernelILj32EfEvPT0_Pi,@function
_Z20shuffle_index_kernelILj32EfEvPT0_Pi: ; @_Z20shuffle_index_kernelILj32EfEvPT0_Pi
; %bb.0:
	s_clause 0x1
	s_load_b32 s4, s[0:1], 0x1c
	s_load_b128 s[0:3], s[0:1], 0x0
	s_waitcnt lgkmcnt(0)
	s_and_b32 s4, s4, 0xffff
	s_delay_alu instid0(SALU_CYCLE_1) | instskip(SKIP_1) | instid1(VALU_DEP_1)
	v_mad_u64_u32 v[1:2], null, s15, s4, v[0:1]
	v_lshrrev_b32_e32 v0, 3, v0
	v_dual_mov_b32 v2, 0 :: v_dual_and_b32 v3, 0x7c, v0
	s_delay_alu instid0(VALU_DEP_1)
	v_lshlrev_b64 v[0:1], 2, v[1:2]
	global_load_b32 v2, v3, s[2:3]
	v_add_co_u32 v0, vcc_lo, s0, v0
	v_add_co_ci_u32_e32 v1, vcc_lo, s1, v1, vcc_lo
	global_load_b32 v3, v[0:1], off
	s_waitcnt vmcnt(1)
	v_and_b32_e32 v2, 31, v2
	s_delay_alu instid0(VALU_DEP_1)
	v_lshlrev_b32_e32 v2, 2, v2
	s_waitcnt vmcnt(0)
	ds_bpermute_b32 v2, v2, v3
	s_waitcnt lgkmcnt(0)
	global_store_b32 v[0:1], v2, off
	s_nop 0
	s_sendmsg sendmsg(MSG_DEALLOC_VGPRS)
	s_endpgm
	.section	.rodata,"a",@progbits
	.p2align	6, 0x0
	.amdhsa_kernel _Z20shuffle_index_kernelILj32EfEvPT0_Pi
		.amdhsa_group_segment_fixed_size 0
		.amdhsa_private_segment_fixed_size 0
		.amdhsa_kernarg_size 272
		.amdhsa_user_sgpr_count 15
		.amdhsa_user_sgpr_dispatch_ptr 0
		.amdhsa_user_sgpr_queue_ptr 0
		.amdhsa_user_sgpr_kernarg_segment_ptr 1
		.amdhsa_user_sgpr_dispatch_id 0
		.amdhsa_user_sgpr_private_segment_size 0
		.amdhsa_wavefront_size32 1
		.amdhsa_uses_dynamic_stack 0
		.amdhsa_enable_private_segment 0
		.amdhsa_system_sgpr_workgroup_id_x 1
		.amdhsa_system_sgpr_workgroup_id_y 0
		.amdhsa_system_sgpr_workgroup_id_z 0
		.amdhsa_system_sgpr_workgroup_info 0
		.amdhsa_system_vgpr_workitem_id 0
		.amdhsa_next_free_vgpr 4
		.amdhsa_next_free_sgpr 16
		.amdhsa_reserve_vcc 1
		.amdhsa_float_round_mode_32 0
		.amdhsa_float_round_mode_16_64 0
		.amdhsa_float_denorm_mode_32 3
		.amdhsa_float_denorm_mode_16_64 3
		.amdhsa_dx10_clamp 1
		.amdhsa_ieee_mode 1
		.amdhsa_fp16_overflow 0
		.amdhsa_workgroup_processor_mode 1
		.amdhsa_memory_ordered 1
		.amdhsa_forward_progress 0
		.amdhsa_shared_vgpr_count 0
		.amdhsa_exception_fp_ieee_invalid_op 0
		.amdhsa_exception_fp_denorm_src 0
		.amdhsa_exception_fp_ieee_div_zero 0
		.amdhsa_exception_fp_ieee_overflow 0
		.amdhsa_exception_fp_ieee_underflow 0
		.amdhsa_exception_fp_ieee_inexact 0
		.amdhsa_exception_int_div_zero 0
	.end_amdhsa_kernel
	.section	.text._Z20shuffle_index_kernelILj32EfEvPT0_Pi,"axG",@progbits,_Z20shuffle_index_kernelILj32EfEvPT0_Pi,comdat
.Lfunc_end40:
	.size	_Z20shuffle_index_kernelILj32EfEvPT0_Pi, .Lfunc_end40-_Z20shuffle_index_kernelILj32EfEvPT0_Pi
                                        ; -- End function
	.section	.AMDGPU.csdata,"",@progbits
; Kernel info:
; codeLenInByte = 152
; NumSgprs: 18
; NumVgprs: 4
; ScratchSize: 0
; MemoryBound: 0
; FloatMode: 240
; IeeeMode: 1
; LDSByteSize: 0 bytes/workgroup (compile time only)
; SGPRBlocks: 2
; VGPRBlocks: 0
; NumSGPRsForWavesPerEU: 18
; NumVGPRsForWavesPerEU: 4
; Occupancy: 16
; WaveLimiterHint : 0
; COMPUTE_PGM_RSRC2:SCRATCH_EN: 0
; COMPUTE_PGM_RSRC2:USER_SGPR: 15
; COMPUTE_PGM_RSRC2:TRAP_HANDLER: 0
; COMPUTE_PGM_RSRC2:TGID_X_EN: 1
; COMPUTE_PGM_RSRC2:TGID_Y_EN: 0
; COMPUTE_PGM_RSRC2:TGID_Z_EN: 0
; COMPUTE_PGM_RSRC2:TIDIG_COMP_CNT: 0
	.section	.text._Z20shuffle_index_kernelILj2EiEvPT0_Pi,"axG",@progbits,_Z20shuffle_index_kernelILj2EiEvPT0_Pi,comdat
	.protected	_Z20shuffle_index_kernelILj2EiEvPT0_Pi ; -- Begin function _Z20shuffle_index_kernelILj2EiEvPT0_Pi
	.globl	_Z20shuffle_index_kernelILj2EiEvPT0_Pi
	.p2align	8
	.type	_Z20shuffle_index_kernelILj2EiEvPT0_Pi,@function
_Z20shuffle_index_kernelILj2EiEvPT0_Pi: ; @_Z20shuffle_index_kernelILj2EiEvPT0_Pi
; %bb.0:
	s_clause 0x1
	s_load_b32 s4, s[0:1], 0x1c
	s_load_b128 s[0:3], s[0:1], 0x0
	v_lshlrev_b32_e32 v3, 1, v0
	v_mbcnt_lo_u32_b32 v4, -1, 0
	s_waitcnt lgkmcnt(0)
	s_and_b32 s4, s4, 0xffff
	s_delay_alu instid0(SALU_CYCLE_1) | instskip(SKIP_4) | instid1(VALU_DEP_1)
	v_mad_u64_u32 v[1:2], null, s15, s4, v[0:1]
	v_mov_b32_e32 v2, 0
	v_and_b32_e32 v0, 0x7fc, v3
	global_load_b32 v3, v0, s[2:3]
	v_lshlrev_b64 v[0:1], 2, v[1:2]
	v_add_co_u32 v0, vcc_lo, s0, v0
	s_delay_alu instid0(VALU_DEP_2) | instskip(SKIP_3) | instid1(VALU_DEP_1)
	v_add_co_ci_u32_e32 v1, vcc_lo, s1, v1, vcc_lo
	global_load_b32 v2, v[0:1], off
	s_waitcnt vmcnt(1)
	v_and_b32_e32 v3, 1, v3
	v_and_or_b32 v3, v4, 30, v3
	s_delay_alu instid0(VALU_DEP_1)
	v_lshlrev_b32_e32 v3, 2, v3
	s_waitcnt vmcnt(0)
	ds_bpermute_b32 v2, v3, v2
	s_waitcnt lgkmcnt(0)
	global_store_b32 v[0:1], v2, off
	s_nop 0
	s_sendmsg sendmsg(MSG_DEALLOC_VGPRS)
	s_endpgm
	.section	.rodata,"a",@progbits
	.p2align	6, 0x0
	.amdhsa_kernel _Z20shuffle_index_kernelILj2EiEvPT0_Pi
		.amdhsa_group_segment_fixed_size 0
		.amdhsa_private_segment_fixed_size 0
		.amdhsa_kernarg_size 272
		.amdhsa_user_sgpr_count 15
		.amdhsa_user_sgpr_dispatch_ptr 0
		.amdhsa_user_sgpr_queue_ptr 0
		.amdhsa_user_sgpr_kernarg_segment_ptr 1
		.amdhsa_user_sgpr_dispatch_id 0
		.amdhsa_user_sgpr_private_segment_size 0
		.amdhsa_wavefront_size32 1
		.amdhsa_uses_dynamic_stack 0
		.amdhsa_enable_private_segment 0
		.amdhsa_system_sgpr_workgroup_id_x 1
		.amdhsa_system_sgpr_workgroup_id_y 0
		.amdhsa_system_sgpr_workgroup_id_z 0
		.amdhsa_system_sgpr_workgroup_info 0
		.amdhsa_system_vgpr_workitem_id 0
		.amdhsa_next_free_vgpr 5
		.amdhsa_next_free_sgpr 16
		.amdhsa_reserve_vcc 1
		.amdhsa_float_round_mode_32 0
		.amdhsa_float_round_mode_16_64 0
		.amdhsa_float_denorm_mode_32 3
		.amdhsa_float_denorm_mode_16_64 3
		.amdhsa_dx10_clamp 1
		.amdhsa_ieee_mode 1
		.amdhsa_fp16_overflow 0
		.amdhsa_workgroup_processor_mode 1
		.amdhsa_memory_ordered 1
		.amdhsa_forward_progress 0
		.amdhsa_shared_vgpr_count 0
		.amdhsa_exception_fp_ieee_invalid_op 0
		.amdhsa_exception_fp_denorm_src 0
		.amdhsa_exception_fp_ieee_div_zero 0
		.amdhsa_exception_fp_ieee_overflow 0
		.amdhsa_exception_fp_ieee_underflow 0
		.amdhsa_exception_fp_ieee_inexact 0
		.amdhsa_exception_int_div_zero 0
	.end_amdhsa_kernel
	.section	.text._Z20shuffle_index_kernelILj2EiEvPT0_Pi,"axG",@progbits,_Z20shuffle_index_kernelILj2EiEvPT0_Pi,comdat
.Lfunc_end41:
	.size	_Z20shuffle_index_kernelILj2EiEvPT0_Pi, .Lfunc_end41-_Z20shuffle_index_kernelILj2EiEvPT0_Pi
                                        ; -- End function
	.section	.AMDGPU.csdata,"",@progbits
; Kernel info:
; codeLenInByte = 168
; NumSgprs: 18
; NumVgprs: 5
; ScratchSize: 0
; MemoryBound: 0
; FloatMode: 240
; IeeeMode: 1
; LDSByteSize: 0 bytes/workgroup (compile time only)
; SGPRBlocks: 2
; VGPRBlocks: 0
; NumSGPRsForWavesPerEU: 18
; NumVGPRsForWavesPerEU: 5
; Occupancy: 16
; WaveLimiterHint : 0
; COMPUTE_PGM_RSRC2:SCRATCH_EN: 0
; COMPUTE_PGM_RSRC2:USER_SGPR: 15
; COMPUTE_PGM_RSRC2:TRAP_HANDLER: 0
; COMPUTE_PGM_RSRC2:TGID_X_EN: 1
; COMPUTE_PGM_RSRC2:TGID_Y_EN: 0
; COMPUTE_PGM_RSRC2:TGID_Z_EN: 0
; COMPUTE_PGM_RSRC2:TIDIG_COMP_CNT: 0
	.section	.text._Z20shuffle_index_kernelILj4EiEvPT0_Pi,"axG",@progbits,_Z20shuffle_index_kernelILj4EiEvPT0_Pi,comdat
	.protected	_Z20shuffle_index_kernelILj4EiEvPT0_Pi ; -- Begin function _Z20shuffle_index_kernelILj4EiEvPT0_Pi
	.globl	_Z20shuffle_index_kernelILj4EiEvPT0_Pi
	.p2align	8
	.type	_Z20shuffle_index_kernelILj4EiEvPT0_Pi,@function
_Z20shuffle_index_kernelILj4EiEvPT0_Pi: ; @_Z20shuffle_index_kernelILj4EiEvPT0_Pi
; %bb.0:
	s_clause 0x1
	s_load_b32 s4, s[0:1], 0x1c
	s_load_b128 s[0:3], s[0:1], 0x0
	v_mbcnt_lo_u32_b32 v4, -1, 0
	s_waitcnt lgkmcnt(0)
	s_and_b32 s4, s4, 0xffff
	s_delay_alu instid0(SALU_CYCLE_1) | instskip(SKIP_4) | instid1(VALU_DEP_1)
	v_mad_u64_u32 v[1:2], null, s15, s4, v[0:1]
	v_and_b32_e32 v0, 0x3fc, v0
	global_load_b32 v3, v0, s[2:3]
	s_waitcnt vmcnt(0)
	v_dual_mov_b32 v2, 0 :: v_dual_and_b32 v3, 3, v3
	v_lshlrev_b64 v[0:1], 2, v[1:2]
	s_delay_alu instid0(VALU_DEP_2) | instskip(NEXT) | instid1(VALU_DEP_2)
	v_and_or_b32 v3, v4, 28, v3
	v_add_co_u32 v0, vcc_lo, s0, v0
	s_delay_alu instid0(VALU_DEP_3) | instskip(NEXT) | instid1(VALU_DEP_3)
	v_add_co_ci_u32_e32 v1, vcc_lo, s1, v1, vcc_lo
	v_lshlrev_b32_e32 v3, 2, v3
	global_load_b32 v2, v[0:1], off
	s_waitcnt vmcnt(0)
	ds_bpermute_b32 v2, v3, v2
	s_waitcnt lgkmcnt(0)
	global_store_b32 v[0:1], v2, off
	s_nop 0
	s_sendmsg sendmsg(MSG_DEALLOC_VGPRS)
	s_endpgm
	.section	.rodata,"a",@progbits
	.p2align	6, 0x0
	.amdhsa_kernel _Z20shuffle_index_kernelILj4EiEvPT0_Pi
		.amdhsa_group_segment_fixed_size 0
		.amdhsa_private_segment_fixed_size 0
		.amdhsa_kernarg_size 272
		.amdhsa_user_sgpr_count 15
		.amdhsa_user_sgpr_dispatch_ptr 0
		.amdhsa_user_sgpr_queue_ptr 0
		.amdhsa_user_sgpr_kernarg_segment_ptr 1
		.amdhsa_user_sgpr_dispatch_id 0
		.amdhsa_user_sgpr_private_segment_size 0
		.amdhsa_wavefront_size32 1
		.amdhsa_uses_dynamic_stack 0
		.amdhsa_enable_private_segment 0
		.amdhsa_system_sgpr_workgroup_id_x 1
		.amdhsa_system_sgpr_workgroup_id_y 0
		.amdhsa_system_sgpr_workgroup_id_z 0
		.amdhsa_system_sgpr_workgroup_info 0
		.amdhsa_system_vgpr_workitem_id 0
		.amdhsa_next_free_vgpr 5
		.amdhsa_next_free_sgpr 16
		.amdhsa_reserve_vcc 1
		.amdhsa_float_round_mode_32 0
		.amdhsa_float_round_mode_16_64 0
		.amdhsa_float_denorm_mode_32 3
		.amdhsa_float_denorm_mode_16_64 3
		.amdhsa_dx10_clamp 1
		.amdhsa_ieee_mode 1
		.amdhsa_fp16_overflow 0
		.amdhsa_workgroup_processor_mode 1
		.amdhsa_memory_ordered 1
		.amdhsa_forward_progress 0
		.amdhsa_shared_vgpr_count 0
		.amdhsa_exception_fp_ieee_invalid_op 0
		.amdhsa_exception_fp_denorm_src 0
		.amdhsa_exception_fp_ieee_div_zero 0
		.amdhsa_exception_fp_ieee_overflow 0
		.amdhsa_exception_fp_ieee_underflow 0
		.amdhsa_exception_fp_ieee_inexact 0
		.amdhsa_exception_int_div_zero 0
	.end_amdhsa_kernel
	.section	.text._Z20shuffle_index_kernelILj4EiEvPT0_Pi,"axG",@progbits,_Z20shuffle_index_kernelILj4EiEvPT0_Pi,comdat
.Lfunc_end42:
	.size	_Z20shuffle_index_kernelILj4EiEvPT0_Pi, .Lfunc_end42-_Z20shuffle_index_kernelILj4EiEvPT0_Pi
                                        ; -- End function
	.section	.AMDGPU.csdata,"",@progbits
; Kernel info:
; codeLenInByte = 164
; NumSgprs: 18
; NumVgprs: 5
; ScratchSize: 0
; MemoryBound: 0
; FloatMode: 240
; IeeeMode: 1
; LDSByteSize: 0 bytes/workgroup (compile time only)
; SGPRBlocks: 2
; VGPRBlocks: 0
; NumSGPRsForWavesPerEU: 18
; NumVGPRsForWavesPerEU: 5
; Occupancy: 16
; WaveLimiterHint : 0
; COMPUTE_PGM_RSRC2:SCRATCH_EN: 0
; COMPUTE_PGM_RSRC2:USER_SGPR: 15
; COMPUTE_PGM_RSRC2:TRAP_HANDLER: 0
; COMPUTE_PGM_RSRC2:TGID_X_EN: 1
; COMPUTE_PGM_RSRC2:TGID_Y_EN: 0
; COMPUTE_PGM_RSRC2:TGID_Z_EN: 0
; COMPUTE_PGM_RSRC2:TIDIG_COMP_CNT: 0
	.section	.text._Z20shuffle_index_kernelILj8EiEvPT0_Pi,"axG",@progbits,_Z20shuffle_index_kernelILj8EiEvPT0_Pi,comdat
	.protected	_Z20shuffle_index_kernelILj8EiEvPT0_Pi ; -- Begin function _Z20shuffle_index_kernelILj8EiEvPT0_Pi
	.globl	_Z20shuffle_index_kernelILj8EiEvPT0_Pi
	.p2align	8
	.type	_Z20shuffle_index_kernelILj8EiEvPT0_Pi,@function
_Z20shuffle_index_kernelILj8EiEvPT0_Pi: ; @_Z20shuffle_index_kernelILj8EiEvPT0_Pi
; %bb.0:
	s_clause 0x1
	s_load_b32 s4, s[0:1], 0x1c
	s_load_b128 s[0:3], s[0:1], 0x0
	v_lshrrev_b32_e32 v3, 1, v0
	v_mbcnt_lo_u32_b32 v4, -1, 0
	s_waitcnt lgkmcnt(0)
	s_and_b32 s4, s4, 0xffff
	s_delay_alu instid0(SALU_CYCLE_1) | instskip(SKIP_4) | instid1(VALU_DEP_1)
	v_mad_u64_u32 v[1:2], null, s15, s4, v[0:1]
	v_and_b32_e32 v0, 0x1fc, v3
	global_load_b32 v3, v0, s[2:3]
	s_waitcnt vmcnt(0)
	v_dual_mov_b32 v2, 0 :: v_dual_and_b32 v3, 7, v3
	v_lshlrev_b64 v[0:1], 2, v[1:2]
	s_delay_alu instid0(VALU_DEP_2) | instskip(NEXT) | instid1(VALU_DEP_2)
	v_and_or_b32 v3, v4, 24, v3
	v_add_co_u32 v0, vcc_lo, s0, v0
	s_delay_alu instid0(VALU_DEP_3) | instskip(NEXT) | instid1(VALU_DEP_3)
	v_add_co_ci_u32_e32 v1, vcc_lo, s1, v1, vcc_lo
	v_lshlrev_b32_e32 v3, 2, v3
	global_load_b32 v2, v[0:1], off
	s_waitcnt vmcnt(0)
	ds_bpermute_b32 v2, v3, v2
	s_waitcnt lgkmcnt(0)
	global_store_b32 v[0:1], v2, off
	s_nop 0
	s_sendmsg sendmsg(MSG_DEALLOC_VGPRS)
	s_endpgm
	.section	.rodata,"a",@progbits
	.p2align	6, 0x0
	.amdhsa_kernel _Z20shuffle_index_kernelILj8EiEvPT0_Pi
		.amdhsa_group_segment_fixed_size 0
		.amdhsa_private_segment_fixed_size 0
		.amdhsa_kernarg_size 272
		.amdhsa_user_sgpr_count 15
		.amdhsa_user_sgpr_dispatch_ptr 0
		.amdhsa_user_sgpr_queue_ptr 0
		.amdhsa_user_sgpr_kernarg_segment_ptr 1
		.amdhsa_user_sgpr_dispatch_id 0
		.amdhsa_user_sgpr_private_segment_size 0
		.amdhsa_wavefront_size32 1
		.amdhsa_uses_dynamic_stack 0
		.amdhsa_enable_private_segment 0
		.amdhsa_system_sgpr_workgroup_id_x 1
		.amdhsa_system_sgpr_workgroup_id_y 0
		.amdhsa_system_sgpr_workgroup_id_z 0
		.amdhsa_system_sgpr_workgroup_info 0
		.amdhsa_system_vgpr_workitem_id 0
		.amdhsa_next_free_vgpr 5
		.amdhsa_next_free_sgpr 16
		.amdhsa_reserve_vcc 1
		.amdhsa_float_round_mode_32 0
		.amdhsa_float_round_mode_16_64 0
		.amdhsa_float_denorm_mode_32 3
		.amdhsa_float_denorm_mode_16_64 3
		.amdhsa_dx10_clamp 1
		.amdhsa_ieee_mode 1
		.amdhsa_fp16_overflow 0
		.amdhsa_workgroup_processor_mode 1
		.amdhsa_memory_ordered 1
		.amdhsa_forward_progress 0
		.amdhsa_shared_vgpr_count 0
		.amdhsa_exception_fp_ieee_invalid_op 0
		.amdhsa_exception_fp_denorm_src 0
		.amdhsa_exception_fp_ieee_div_zero 0
		.amdhsa_exception_fp_ieee_overflow 0
		.amdhsa_exception_fp_ieee_underflow 0
		.amdhsa_exception_fp_ieee_inexact 0
		.amdhsa_exception_int_div_zero 0
	.end_amdhsa_kernel
	.section	.text._Z20shuffle_index_kernelILj8EiEvPT0_Pi,"axG",@progbits,_Z20shuffle_index_kernelILj8EiEvPT0_Pi,comdat
.Lfunc_end43:
	.size	_Z20shuffle_index_kernelILj8EiEvPT0_Pi, .Lfunc_end43-_Z20shuffle_index_kernelILj8EiEvPT0_Pi
                                        ; -- End function
	.section	.AMDGPU.csdata,"",@progbits
; Kernel info:
; codeLenInByte = 168
; NumSgprs: 18
; NumVgprs: 5
; ScratchSize: 0
; MemoryBound: 0
; FloatMode: 240
; IeeeMode: 1
; LDSByteSize: 0 bytes/workgroup (compile time only)
; SGPRBlocks: 2
; VGPRBlocks: 0
; NumSGPRsForWavesPerEU: 18
; NumVGPRsForWavesPerEU: 5
; Occupancy: 16
; WaveLimiterHint : 0
; COMPUTE_PGM_RSRC2:SCRATCH_EN: 0
; COMPUTE_PGM_RSRC2:USER_SGPR: 15
; COMPUTE_PGM_RSRC2:TRAP_HANDLER: 0
; COMPUTE_PGM_RSRC2:TGID_X_EN: 1
; COMPUTE_PGM_RSRC2:TGID_Y_EN: 0
; COMPUTE_PGM_RSRC2:TGID_Z_EN: 0
; COMPUTE_PGM_RSRC2:TIDIG_COMP_CNT: 0
	.section	.text._Z20shuffle_index_kernelILj16EiEvPT0_Pi,"axG",@progbits,_Z20shuffle_index_kernelILj16EiEvPT0_Pi,comdat
	.protected	_Z20shuffle_index_kernelILj16EiEvPT0_Pi ; -- Begin function _Z20shuffle_index_kernelILj16EiEvPT0_Pi
	.globl	_Z20shuffle_index_kernelILj16EiEvPT0_Pi
	.p2align	8
	.type	_Z20shuffle_index_kernelILj16EiEvPT0_Pi,@function
_Z20shuffle_index_kernelILj16EiEvPT0_Pi: ; @_Z20shuffle_index_kernelILj16EiEvPT0_Pi
; %bb.0:
	s_clause 0x1
	s_load_b32 s4, s[0:1], 0x1c
	s_load_b128 s[0:3], s[0:1], 0x0
	v_lshrrev_b32_e32 v3, 2, v0
	v_mbcnt_lo_u32_b32 v4, -1, 0
	s_waitcnt lgkmcnt(0)
	s_and_b32 s4, s4, 0xffff
	s_delay_alu instid0(SALU_CYCLE_1) | instskip(SKIP_4) | instid1(VALU_DEP_1)
	v_mad_u64_u32 v[1:2], null, s15, s4, v[0:1]
	v_and_b32_e32 v0, 0xfc, v3
	global_load_b32 v3, v0, s[2:3]
	s_waitcnt vmcnt(0)
	v_dual_mov_b32 v2, 0 :: v_dual_and_b32 v3, 15, v3
	v_lshlrev_b64 v[0:1], 2, v[1:2]
	s_delay_alu instid0(VALU_DEP_2) | instskip(NEXT) | instid1(VALU_DEP_2)
	v_and_or_b32 v3, v4, 16, v3
	v_add_co_u32 v0, vcc_lo, s0, v0
	s_delay_alu instid0(VALU_DEP_3) | instskip(NEXT) | instid1(VALU_DEP_3)
	v_add_co_ci_u32_e32 v1, vcc_lo, s1, v1, vcc_lo
	v_lshlrev_b32_e32 v3, 2, v3
	global_load_b32 v2, v[0:1], off
	s_waitcnt vmcnt(0)
	ds_bpermute_b32 v2, v3, v2
	s_waitcnt lgkmcnt(0)
	global_store_b32 v[0:1], v2, off
	s_nop 0
	s_sendmsg sendmsg(MSG_DEALLOC_VGPRS)
	s_endpgm
	.section	.rodata,"a",@progbits
	.p2align	6, 0x0
	.amdhsa_kernel _Z20shuffle_index_kernelILj16EiEvPT0_Pi
		.amdhsa_group_segment_fixed_size 0
		.amdhsa_private_segment_fixed_size 0
		.amdhsa_kernarg_size 272
		.amdhsa_user_sgpr_count 15
		.amdhsa_user_sgpr_dispatch_ptr 0
		.amdhsa_user_sgpr_queue_ptr 0
		.amdhsa_user_sgpr_kernarg_segment_ptr 1
		.amdhsa_user_sgpr_dispatch_id 0
		.amdhsa_user_sgpr_private_segment_size 0
		.amdhsa_wavefront_size32 1
		.amdhsa_uses_dynamic_stack 0
		.amdhsa_enable_private_segment 0
		.amdhsa_system_sgpr_workgroup_id_x 1
		.amdhsa_system_sgpr_workgroup_id_y 0
		.amdhsa_system_sgpr_workgroup_id_z 0
		.amdhsa_system_sgpr_workgroup_info 0
		.amdhsa_system_vgpr_workitem_id 0
		.amdhsa_next_free_vgpr 5
		.amdhsa_next_free_sgpr 16
		.amdhsa_reserve_vcc 1
		.amdhsa_float_round_mode_32 0
		.amdhsa_float_round_mode_16_64 0
		.amdhsa_float_denorm_mode_32 3
		.amdhsa_float_denorm_mode_16_64 3
		.amdhsa_dx10_clamp 1
		.amdhsa_ieee_mode 1
		.amdhsa_fp16_overflow 0
		.amdhsa_workgroup_processor_mode 1
		.amdhsa_memory_ordered 1
		.amdhsa_forward_progress 0
		.amdhsa_shared_vgpr_count 0
		.amdhsa_exception_fp_ieee_invalid_op 0
		.amdhsa_exception_fp_denorm_src 0
		.amdhsa_exception_fp_ieee_div_zero 0
		.amdhsa_exception_fp_ieee_overflow 0
		.amdhsa_exception_fp_ieee_underflow 0
		.amdhsa_exception_fp_ieee_inexact 0
		.amdhsa_exception_int_div_zero 0
	.end_amdhsa_kernel
	.section	.text._Z20shuffle_index_kernelILj16EiEvPT0_Pi,"axG",@progbits,_Z20shuffle_index_kernelILj16EiEvPT0_Pi,comdat
.Lfunc_end44:
	.size	_Z20shuffle_index_kernelILj16EiEvPT0_Pi, .Lfunc_end44-_Z20shuffle_index_kernelILj16EiEvPT0_Pi
                                        ; -- End function
	.section	.AMDGPU.csdata,"",@progbits
; Kernel info:
; codeLenInByte = 168
; NumSgprs: 18
; NumVgprs: 5
; ScratchSize: 0
; MemoryBound: 0
; FloatMode: 240
; IeeeMode: 1
; LDSByteSize: 0 bytes/workgroup (compile time only)
; SGPRBlocks: 2
; VGPRBlocks: 0
; NumSGPRsForWavesPerEU: 18
; NumVGPRsForWavesPerEU: 5
; Occupancy: 16
; WaveLimiterHint : 0
; COMPUTE_PGM_RSRC2:SCRATCH_EN: 0
; COMPUTE_PGM_RSRC2:USER_SGPR: 15
; COMPUTE_PGM_RSRC2:TRAP_HANDLER: 0
; COMPUTE_PGM_RSRC2:TGID_X_EN: 1
; COMPUTE_PGM_RSRC2:TGID_Y_EN: 0
; COMPUTE_PGM_RSRC2:TGID_Z_EN: 0
; COMPUTE_PGM_RSRC2:TIDIG_COMP_CNT: 0
	.section	.text._Z20shuffle_index_kernelILj32EiEvPT0_Pi,"axG",@progbits,_Z20shuffle_index_kernelILj32EiEvPT0_Pi,comdat
	.protected	_Z20shuffle_index_kernelILj32EiEvPT0_Pi ; -- Begin function _Z20shuffle_index_kernelILj32EiEvPT0_Pi
	.globl	_Z20shuffle_index_kernelILj32EiEvPT0_Pi
	.p2align	8
	.type	_Z20shuffle_index_kernelILj32EiEvPT0_Pi,@function
_Z20shuffle_index_kernelILj32EiEvPT0_Pi: ; @_Z20shuffle_index_kernelILj32EiEvPT0_Pi
; %bb.0:
	s_clause 0x1
	s_load_b32 s4, s[0:1], 0x1c
	s_load_b128 s[0:3], s[0:1], 0x0
	s_waitcnt lgkmcnt(0)
	s_and_b32 s4, s4, 0xffff
	s_delay_alu instid0(SALU_CYCLE_1) | instskip(SKIP_1) | instid1(VALU_DEP_1)
	v_mad_u64_u32 v[1:2], null, s15, s4, v[0:1]
	v_lshrrev_b32_e32 v0, 3, v0
	v_dual_mov_b32 v2, 0 :: v_dual_and_b32 v3, 0x7c, v0
	s_delay_alu instid0(VALU_DEP_1)
	v_lshlrev_b64 v[0:1], 2, v[1:2]
	global_load_b32 v2, v3, s[2:3]
	v_add_co_u32 v0, vcc_lo, s0, v0
	v_add_co_ci_u32_e32 v1, vcc_lo, s1, v1, vcc_lo
	global_load_b32 v3, v[0:1], off
	s_waitcnt vmcnt(1)
	v_and_b32_e32 v2, 31, v2
	s_delay_alu instid0(VALU_DEP_1)
	v_lshlrev_b32_e32 v2, 2, v2
	s_waitcnt vmcnt(0)
	ds_bpermute_b32 v2, v2, v3
	s_waitcnt lgkmcnt(0)
	global_store_b32 v[0:1], v2, off
	s_nop 0
	s_sendmsg sendmsg(MSG_DEALLOC_VGPRS)
	s_endpgm
	.section	.rodata,"a",@progbits
	.p2align	6, 0x0
	.amdhsa_kernel _Z20shuffle_index_kernelILj32EiEvPT0_Pi
		.amdhsa_group_segment_fixed_size 0
		.amdhsa_private_segment_fixed_size 0
		.amdhsa_kernarg_size 272
		.amdhsa_user_sgpr_count 15
		.amdhsa_user_sgpr_dispatch_ptr 0
		.amdhsa_user_sgpr_queue_ptr 0
		.amdhsa_user_sgpr_kernarg_segment_ptr 1
		.amdhsa_user_sgpr_dispatch_id 0
		.amdhsa_user_sgpr_private_segment_size 0
		.amdhsa_wavefront_size32 1
		.amdhsa_uses_dynamic_stack 0
		.amdhsa_enable_private_segment 0
		.amdhsa_system_sgpr_workgroup_id_x 1
		.amdhsa_system_sgpr_workgroup_id_y 0
		.amdhsa_system_sgpr_workgroup_id_z 0
		.amdhsa_system_sgpr_workgroup_info 0
		.amdhsa_system_vgpr_workitem_id 0
		.amdhsa_next_free_vgpr 4
		.amdhsa_next_free_sgpr 16
		.amdhsa_reserve_vcc 1
		.amdhsa_float_round_mode_32 0
		.amdhsa_float_round_mode_16_64 0
		.amdhsa_float_denorm_mode_32 3
		.amdhsa_float_denorm_mode_16_64 3
		.amdhsa_dx10_clamp 1
		.amdhsa_ieee_mode 1
		.amdhsa_fp16_overflow 0
		.amdhsa_workgroup_processor_mode 1
		.amdhsa_memory_ordered 1
		.amdhsa_forward_progress 0
		.amdhsa_shared_vgpr_count 0
		.amdhsa_exception_fp_ieee_invalid_op 0
		.amdhsa_exception_fp_denorm_src 0
		.amdhsa_exception_fp_ieee_div_zero 0
		.amdhsa_exception_fp_ieee_overflow 0
		.amdhsa_exception_fp_ieee_underflow 0
		.amdhsa_exception_fp_ieee_inexact 0
		.amdhsa_exception_int_div_zero 0
	.end_amdhsa_kernel
	.section	.text._Z20shuffle_index_kernelILj32EiEvPT0_Pi,"axG",@progbits,_Z20shuffle_index_kernelILj32EiEvPT0_Pi,comdat
.Lfunc_end45:
	.size	_Z20shuffle_index_kernelILj32EiEvPT0_Pi, .Lfunc_end45-_Z20shuffle_index_kernelILj32EiEvPT0_Pi
                                        ; -- End function
	.section	.AMDGPU.csdata,"",@progbits
; Kernel info:
; codeLenInByte = 152
; NumSgprs: 18
; NumVgprs: 4
; ScratchSize: 0
; MemoryBound: 0
; FloatMode: 240
; IeeeMode: 1
; LDSByteSize: 0 bytes/workgroup (compile time only)
; SGPRBlocks: 2
; VGPRBlocks: 0
; NumSGPRsForWavesPerEU: 18
; NumVGPRsForWavesPerEU: 4
; Occupancy: 16
; WaveLimiterHint : 0
; COMPUTE_PGM_RSRC2:SCRATCH_EN: 0
; COMPUTE_PGM_RSRC2:USER_SGPR: 15
; COMPUTE_PGM_RSRC2:TRAP_HANDLER: 0
; COMPUTE_PGM_RSRC2:TGID_X_EN: 1
; COMPUTE_PGM_RSRC2:TGID_Y_EN: 0
; COMPUTE_PGM_RSRC2:TGID_Z_EN: 0
; COMPUTE_PGM_RSRC2:TIDIG_COMP_CNT: 0
	.section	.text._Z17shuffle_up_kernelILj32E17custom_notalignedEvPT0_j,"axG",@progbits,_Z17shuffle_up_kernelILj32E17custom_notalignedEvPT0_j,comdat
	.protected	_Z17shuffle_up_kernelILj32E17custom_notalignedEvPT0_j ; -- Begin function _Z17shuffle_up_kernelILj32E17custom_notalignedEvPT0_j
	.globl	_Z17shuffle_up_kernelILj32E17custom_notalignedEvPT0_j
	.p2align	8
	.type	_Z17shuffle_up_kernelILj32E17custom_notalignedEvPT0_j,@function
_Z17shuffle_up_kernelILj32E17custom_notalignedEvPT0_j: ; @_Z17shuffle_up_kernelILj32E17custom_notalignedEvPT0_j
; %bb.0:
	s_clause 0x2
	s_load_b32 s4, s[0:1], 0x1c
	s_load_b64 s[2:3], s[0:1], 0x0
	s_load_b32 s0, s[0:1], 0x8
	v_mbcnt_lo_u32_b32 v8, -1, 0
	s_waitcnt lgkmcnt(0)
	s_and_b32 s4, s4, 0xffff
	s_delay_alu instid0(VALU_DEP_1) | instskip(SKIP_1) | instid1(VALU_DEP_2)
	v_subrev_nc_u32_e32 v9, s0, v8
	v_mad_u64_u32 v[1:2], null, s15, s4, v[0:1]
	v_cmp_gt_i32_e32 vcc_lo, 0, v9
	s_delay_alu instid0(VALU_DEP_2)
	v_mad_u64_u32 v[4:5], null, v1, 24, s[2:3]
	v_cndmask_b32_e32 v8, v9, v8, vcc_lo
	s_clause 0x1
	global_load_b128 v[0:3], v[4:5], off
	global_load_b64 v[6:7], v[4:5], off offset:16
	v_lshlrev_b32_e32 v8, 2, v8
	s_waitcnt vmcnt(1)
	ds_bpermute_b32 v0, v8, v0
	ds_bpermute_b32 v1, v8, v1
	;; [unrolled: 1-line block ×4, first 2 shown]
	s_waitcnt vmcnt(0)
	ds_bpermute_b32 v6, v8, v6
	ds_bpermute_b32 v7, v8, v7
	s_waitcnt lgkmcnt(2)
	global_store_b128 v[4:5], v[0:3], off
	s_waitcnt lgkmcnt(0)
	global_store_b64 v[4:5], v[6:7], off offset:16
	s_nop 0
	s_sendmsg sendmsg(MSG_DEALLOC_VGPRS)
	s_endpgm
	.section	.rodata,"a",@progbits
	.p2align	6, 0x0
	.amdhsa_kernel _Z17shuffle_up_kernelILj32E17custom_notalignedEvPT0_j
		.amdhsa_group_segment_fixed_size 0
		.amdhsa_private_segment_fixed_size 0
		.amdhsa_kernarg_size 272
		.amdhsa_user_sgpr_count 15
		.amdhsa_user_sgpr_dispatch_ptr 0
		.amdhsa_user_sgpr_queue_ptr 0
		.amdhsa_user_sgpr_kernarg_segment_ptr 1
		.amdhsa_user_sgpr_dispatch_id 0
		.amdhsa_user_sgpr_private_segment_size 0
		.amdhsa_wavefront_size32 1
		.amdhsa_uses_dynamic_stack 0
		.amdhsa_enable_private_segment 0
		.amdhsa_system_sgpr_workgroup_id_x 1
		.amdhsa_system_sgpr_workgroup_id_y 0
		.amdhsa_system_sgpr_workgroup_id_z 0
		.amdhsa_system_sgpr_workgroup_info 0
		.amdhsa_system_vgpr_workitem_id 0
		.amdhsa_next_free_vgpr 10
		.amdhsa_next_free_sgpr 16
		.amdhsa_reserve_vcc 1
		.amdhsa_float_round_mode_32 0
		.amdhsa_float_round_mode_16_64 0
		.amdhsa_float_denorm_mode_32 3
		.amdhsa_float_denorm_mode_16_64 3
		.amdhsa_dx10_clamp 1
		.amdhsa_ieee_mode 1
		.amdhsa_fp16_overflow 0
		.amdhsa_workgroup_processor_mode 1
		.amdhsa_memory_ordered 1
		.amdhsa_forward_progress 0
		.amdhsa_shared_vgpr_count 0
		.amdhsa_exception_fp_ieee_invalid_op 0
		.amdhsa_exception_fp_denorm_src 0
		.amdhsa_exception_fp_ieee_div_zero 0
		.amdhsa_exception_fp_ieee_overflow 0
		.amdhsa_exception_fp_ieee_underflow 0
		.amdhsa_exception_fp_ieee_inexact 0
		.amdhsa_exception_int_div_zero 0
	.end_amdhsa_kernel
	.section	.text._Z17shuffle_up_kernelILj32E17custom_notalignedEvPT0_j,"axG",@progbits,_Z17shuffle_up_kernelILj32E17custom_notalignedEvPT0_j,comdat
.Lfunc_end46:
	.size	_Z17shuffle_up_kernelILj32E17custom_notalignedEvPT0_j, .Lfunc_end46-_Z17shuffle_up_kernelILj32E17custom_notalignedEvPT0_j
                                        ; -- End function
	.section	.AMDGPU.csdata,"",@progbits
; Kernel info:
; codeLenInByte = 200
; NumSgprs: 18
; NumVgprs: 10
; ScratchSize: 0
; MemoryBound: 0
; FloatMode: 240
; IeeeMode: 1
; LDSByteSize: 0 bytes/workgroup (compile time only)
; SGPRBlocks: 2
; VGPRBlocks: 1
; NumSGPRsForWavesPerEU: 18
; NumVGPRsForWavesPerEU: 10
; Occupancy: 16
; WaveLimiterHint : 0
; COMPUTE_PGM_RSRC2:SCRATCH_EN: 0
; COMPUTE_PGM_RSRC2:USER_SGPR: 15
; COMPUTE_PGM_RSRC2:TRAP_HANDLER: 0
; COMPUTE_PGM_RSRC2:TGID_X_EN: 1
; COMPUTE_PGM_RSRC2:TGID_Y_EN: 0
; COMPUTE_PGM_RSRC2:TGID_Z_EN: 0
; COMPUTE_PGM_RSRC2:TIDIG_COMP_CNT: 0
	.section	.text._Z17shuffle_up_kernelILj64E17custom_notalignedEvPT0_j,"axG",@progbits,_Z17shuffle_up_kernelILj64E17custom_notalignedEvPT0_j,comdat
	.protected	_Z17shuffle_up_kernelILj64E17custom_notalignedEvPT0_j ; -- Begin function _Z17shuffle_up_kernelILj64E17custom_notalignedEvPT0_j
	.globl	_Z17shuffle_up_kernelILj64E17custom_notalignedEvPT0_j
	.p2align	8
	.type	_Z17shuffle_up_kernelILj64E17custom_notalignedEvPT0_j,@function
_Z17shuffle_up_kernelILj64E17custom_notalignedEvPT0_j: ; @_Z17shuffle_up_kernelILj64E17custom_notalignedEvPT0_j
; %bb.0:
	s_clause 0x2
	s_load_b32 s4, s[0:1], 0x1c
	s_load_b64 s[2:3], s[0:1], 0x0
	s_load_b32 s0, s[0:1], 0x8
	v_mbcnt_lo_u32_b32 v8, -1, 0
	s_waitcnt lgkmcnt(0)
	s_and_b32 s4, s4, 0xffff
	s_delay_alu instid0(VALU_DEP_1) | instskip(SKIP_1) | instid1(VALU_DEP_2)
	v_subrev_nc_u32_e32 v9, s0, v8
	v_mad_u64_u32 v[1:2], null, s15, s4, v[0:1]
	v_cmp_gt_i32_e32 vcc_lo, 0, v9
	s_delay_alu instid0(VALU_DEP_2)
	v_mad_u64_u32 v[4:5], null, v1, 24, s[2:3]
	v_cndmask_b32_e32 v8, v9, v8, vcc_lo
	s_clause 0x1
	global_load_b128 v[0:3], v[4:5], off
	global_load_b64 v[6:7], v[4:5], off offset:16
	v_lshlrev_b32_e32 v8, 2, v8
	s_waitcnt vmcnt(1)
	ds_bpermute_b32 v0, v8, v0
	ds_bpermute_b32 v1, v8, v1
	;; [unrolled: 1-line block ×4, first 2 shown]
	s_waitcnt vmcnt(0)
	ds_bpermute_b32 v6, v8, v6
	ds_bpermute_b32 v7, v8, v7
	s_waitcnt lgkmcnt(2)
	global_store_b128 v[4:5], v[0:3], off
	s_waitcnt lgkmcnt(0)
	global_store_b64 v[4:5], v[6:7], off offset:16
	s_nop 0
	s_sendmsg sendmsg(MSG_DEALLOC_VGPRS)
	s_endpgm
	.section	.rodata,"a",@progbits
	.p2align	6, 0x0
	.amdhsa_kernel _Z17shuffle_up_kernelILj64E17custom_notalignedEvPT0_j
		.amdhsa_group_segment_fixed_size 0
		.amdhsa_private_segment_fixed_size 0
		.amdhsa_kernarg_size 272
		.amdhsa_user_sgpr_count 15
		.amdhsa_user_sgpr_dispatch_ptr 0
		.amdhsa_user_sgpr_queue_ptr 0
		.amdhsa_user_sgpr_kernarg_segment_ptr 1
		.amdhsa_user_sgpr_dispatch_id 0
		.amdhsa_user_sgpr_private_segment_size 0
		.amdhsa_wavefront_size32 1
		.amdhsa_uses_dynamic_stack 0
		.amdhsa_enable_private_segment 0
		.amdhsa_system_sgpr_workgroup_id_x 1
		.amdhsa_system_sgpr_workgroup_id_y 0
		.amdhsa_system_sgpr_workgroup_id_z 0
		.amdhsa_system_sgpr_workgroup_info 0
		.amdhsa_system_vgpr_workitem_id 0
		.amdhsa_next_free_vgpr 10
		.amdhsa_next_free_sgpr 16
		.amdhsa_reserve_vcc 1
		.amdhsa_float_round_mode_32 0
		.amdhsa_float_round_mode_16_64 0
		.amdhsa_float_denorm_mode_32 3
		.amdhsa_float_denorm_mode_16_64 3
		.amdhsa_dx10_clamp 1
		.amdhsa_ieee_mode 1
		.amdhsa_fp16_overflow 0
		.amdhsa_workgroup_processor_mode 1
		.amdhsa_memory_ordered 1
		.amdhsa_forward_progress 0
		.amdhsa_shared_vgpr_count 0
		.amdhsa_exception_fp_ieee_invalid_op 0
		.amdhsa_exception_fp_denorm_src 0
		.amdhsa_exception_fp_ieee_div_zero 0
		.amdhsa_exception_fp_ieee_overflow 0
		.amdhsa_exception_fp_ieee_underflow 0
		.amdhsa_exception_fp_ieee_inexact 0
		.amdhsa_exception_int_div_zero 0
	.end_amdhsa_kernel
	.section	.text._Z17shuffle_up_kernelILj64E17custom_notalignedEvPT0_j,"axG",@progbits,_Z17shuffle_up_kernelILj64E17custom_notalignedEvPT0_j,comdat
.Lfunc_end47:
	.size	_Z17shuffle_up_kernelILj64E17custom_notalignedEvPT0_j, .Lfunc_end47-_Z17shuffle_up_kernelILj64E17custom_notalignedEvPT0_j
                                        ; -- End function
	.section	.AMDGPU.csdata,"",@progbits
; Kernel info:
; codeLenInByte = 200
; NumSgprs: 18
; NumVgprs: 10
; ScratchSize: 0
; MemoryBound: 0
; FloatMode: 240
; IeeeMode: 1
; LDSByteSize: 0 bytes/workgroup (compile time only)
; SGPRBlocks: 2
; VGPRBlocks: 1
; NumSGPRsForWavesPerEU: 18
; NumVGPRsForWavesPerEU: 10
; Occupancy: 16
; WaveLimiterHint : 0
; COMPUTE_PGM_RSRC2:SCRATCH_EN: 0
; COMPUTE_PGM_RSRC2:USER_SGPR: 15
; COMPUTE_PGM_RSRC2:TRAP_HANDLER: 0
; COMPUTE_PGM_RSRC2:TGID_X_EN: 1
; COMPUTE_PGM_RSRC2:TGID_Y_EN: 0
; COMPUTE_PGM_RSRC2:TGID_Z_EN: 0
; COMPUTE_PGM_RSRC2:TIDIG_COMP_CNT: 0
	.section	.text._Z17shuffle_up_kernelILj32E16custom_16alignedEvPT0_j,"axG",@progbits,_Z17shuffle_up_kernelILj32E16custom_16alignedEvPT0_j,comdat
	.protected	_Z17shuffle_up_kernelILj32E16custom_16alignedEvPT0_j ; -- Begin function _Z17shuffle_up_kernelILj32E16custom_16alignedEvPT0_j
	.globl	_Z17shuffle_up_kernelILj32E16custom_16alignedEvPT0_j
	.p2align	8
	.type	_Z17shuffle_up_kernelILj32E16custom_16alignedEvPT0_j,@function
_Z17shuffle_up_kernelILj32E16custom_16alignedEvPT0_j: ; @_Z17shuffle_up_kernelILj32E16custom_16alignedEvPT0_j
; %bb.0:
	s_clause 0x2
	s_load_b32 s4, s[0:1], 0x1c
	s_load_b64 s[2:3], s[0:1], 0x0
	s_load_b32 s0, s[0:1], 0x8
	v_mbcnt_lo_u32_b32 v5, -1, 0
	s_waitcnt lgkmcnt(0)
	s_and_b32 s4, s4, 0xffff
	s_delay_alu instid0(VALU_DEP_1) | instskip(SKIP_2) | instid1(VALU_DEP_1)
	v_subrev_nc_u32_e32 v6, s0, v5
	v_mad_u64_u32 v[1:2], null, s15, s4, v[0:1]
	v_mov_b32_e32 v2, 0
	v_lshlrev_b64 v[0:1], 4, v[1:2]
	s_delay_alu instid0(VALU_DEP_1) | instskip(NEXT) | instid1(VALU_DEP_2)
	v_add_co_u32 v3, vcc_lo, s2, v0
	v_add_co_ci_u32_e32 v4, vcc_lo, s3, v1, vcc_lo
	v_cmp_gt_i32_e32 vcc_lo, 0, v6
	global_load_b96 v[0:2], v[3:4], off
	v_cndmask_b32_e32 v5, v6, v5, vcc_lo
	s_delay_alu instid0(VALU_DEP_1)
	v_lshlrev_b32_e32 v5, 2, v5
	s_waitcnt vmcnt(0)
	ds_bpermute_b32 v0, v5, v0
	ds_bpermute_b32 v1, v5, v1
	;; [unrolled: 1-line block ×3, first 2 shown]
	s_waitcnt lgkmcnt(0)
	global_store_b96 v[3:4], v[0:2], off
	s_nop 0
	s_sendmsg sendmsg(MSG_DEALLOC_VGPRS)
	s_endpgm
	.section	.rodata,"a",@progbits
	.p2align	6, 0x0
	.amdhsa_kernel _Z17shuffle_up_kernelILj32E16custom_16alignedEvPT0_j
		.amdhsa_group_segment_fixed_size 0
		.amdhsa_private_segment_fixed_size 0
		.amdhsa_kernarg_size 272
		.amdhsa_user_sgpr_count 15
		.amdhsa_user_sgpr_dispatch_ptr 0
		.amdhsa_user_sgpr_queue_ptr 0
		.amdhsa_user_sgpr_kernarg_segment_ptr 1
		.amdhsa_user_sgpr_dispatch_id 0
		.amdhsa_user_sgpr_private_segment_size 0
		.amdhsa_wavefront_size32 1
		.amdhsa_uses_dynamic_stack 0
		.amdhsa_enable_private_segment 0
		.amdhsa_system_sgpr_workgroup_id_x 1
		.amdhsa_system_sgpr_workgroup_id_y 0
		.amdhsa_system_sgpr_workgroup_id_z 0
		.amdhsa_system_sgpr_workgroup_info 0
		.amdhsa_system_vgpr_workitem_id 0
		.amdhsa_next_free_vgpr 7
		.amdhsa_next_free_sgpr 16
		.amdhsa_reserve_vcc 1
		.amdhsa_float_round_mode_32 0
		.amdhsa_float_round_mode_16_64 0
		.amdhsa_float_denorm_mode_32 3
		.amdhsa_float_denorm_mode_16_64 3
		.amdhsa_dx10_clamp 1
		.amdhsa_ieee_mode 1
		.amdhsa_fp16_overflow 0
		.amdhsa_workgroup_processor_mode 1
		.amdhsa_memory_ordered 1
		.amdhsa_forward_progress 0
		.amdhsa_shared_vgpr_count 0
		.amdhsa_exception_fp_ieee_invalid_op 0
		.amdhsa_exception_fp_denorm_src 0
		.amdhsa_exception_fp_ieee_div_zero 0
		.amdhsa_exception_fp_ieee_overflow 0
		.amdhsa_exception_fp_ieee_underflow 0
		.amdhsa_exception_fp_ieee_inexact 0
		.amdhsa_exception_int_div_zero 0
	.end_amdhsa_kernel
	.section	.text._Z17shuffle_up_kernelILj32E16custom_16alignedEvPT0_j,"axG",@progbits,_Z17shuffle_up_kernelILj32E16custom_16alignedEvPT0_j,comdat
.Lfunc_end48:
	.size	_Z17shuffle_up_kernelILj32E16custom_16alignedEvPT0_j, .Lfunc_end48-_Z17shuffle_up_kernelILj32E16custom_16alignedEvPT0_j
                                        ; -- End function
	.section	.AMDGPU.csdata,"",@progbits
; Kernel info:
; codeLenInByte = 168
; NumSgprs: 18
; NumVgprs: 7
; ScratchSize: 0
; MemoryBound: 0
; FloatMode: 240
; IeeeMode: 1
; LDSByteSize: 0 bytes/workgroup (compile time only)
; SGPRBlocks: 2
; VGPRBlocks: 0
; NumSGPRsForWavesPerEU: 18
; NumVGPRsForWavesPerEU: 7
; Occupancy: 16
; WaveLimiterHint : 0
; COMPUTE_PGM_RSRC2:SCRATCH_EN: 0
; COMPUTE_PGM_RSRC2:USER_SGPR: 15
; COMPUTE_PGM_RSRC2:TRAP_HANDLER: 0
; COMPUTE_PGM_RSRC2:TGID_X_EN: 1
; COMPUTE_PGM_RSRC2:TGID_Y_EN: 0
; COMPUTE_PGM_RSRC2:TGID_Z_EN: 0
; COMPUTE_PGM_RSRC2:TIDIG_COMP_CNT: 0
	.section	.text._Z17shuffle_up_kernelILj64E16custom_16alignedEvPT0_j,"axG",@progbits,_Z17shuffle_up_kernelILj64E16custom_16alignedEvPT0_j,comdat
	.protected	_Z17shuffle_up_kernelILj64E16custom_16alignedEvPT0_j ; -- Begin function _Z17shuffle_up_kernelILj64E16custom_16alignedEvPT0_j
	.globl	_Z17shuffle_up_kernelILj64E16custom_16alignedEvPT0_j
	.p2align	8
	.type	_Z17shuffle_up_kernelILj64E16custom_16alignedEvPT0_j,@function
_Z17shuffle_up_kernelILj64E16custom_16alignedEvPT0_j: ; @_Z17shuffle_up_kernelILj64E16custom_16alignedEvPT0_j
; %bb.0:
	s_clause 0x2
	s_load_b32 s4, s[0:1], 0x1c
	s_load_b64 s[2:3], s[0:1], 0x0
	s_load_b32 s0, s[0:1], 0x8
	v_mbcnt_lo_u32_b32 v5, -1, 0
	s_waitcnt lgkmcnt(0)
	s_and_b32 s4, s4, 0xffff
	s_delay_alu instid0(VALU_DEP_1) | instskip(SKIP_2) | instid1(VALU_DEP_1)
	v_subrev_nc_u32_e32 v6, s0, v5
	v_mad_u64_u32 v[1:2], null, s15, s4, v[0:1]
	v_mov_b32_e32 v2, 0
	v_lshlrev_b64 v[0:1], 4, v[1:2]
	s_delay_alu instid0(VALU_DEP_1) | instskip(NEXT) | instid1(VALU_DEP_2)
	v_add_co_u32 v3, vcc_lo, s2, v0
	v_add_co_ci_u32_e32 v4, vcc_lo, s3, v1, vcc_lo
	v_cmp_gt_i32_e32 vcc_lo, 0, v6
	global_load_b96 v[0:2], v[3:4], off
	v_cndmask_b32_e32 v5, v6, v5, vcc_lo
	s_delay_alu instid0(VALU_DEP_1)
	v_lshlrev_b32_e32 v5, 2, v5
	s_waitcnt vmcnt(0)
	ds_bpermute_b32 v0, v5, v0
	ds_bpermute_b32 v1, v5, v1
	;; [unrolled: 1-line block ×3, first 2 shown]
	s_waitcnt lgkmcnt(0)
	global_store_b96 v[3:4], v[0:2], off
	s_nop 0
	s_sendmsg sendmsg(MSG_DEALLOC_VGPRS)
	s_endpgm
	.section	.rodata,"a",@progbits
	.p2align	6, 0x0
	.amdhsa_kernel _Z17shuffle_up_kernelILj64E16custom_16alignedEvPT0_j
		.amdhsa_group_segment_fixed_size 0
		.amdhsa_private_segment_fixed_size 0
		.amdhsa_kernarg_size 272
		.amdhsa_user_sgpr_count 15
		.amdhsa_user_sgpr_dispatch_ptr 0
		.amdhsa_user_sgpr_queue_ptr 0
		.amdhsa_user_sgpr_kernarg_segment_ptr 1
		.amdhsa_user_sgpr_dispatch_id 0
		.amdhsa_user_sgpr_private_segment_size 0
		.amdhsa_wavefront_size32 1
		.amdhsa_uses_dynamic_stack 0
		.amdhsa_enable_private_segment 0
		.amdhsa_system_sgpr_workgroup_id_x 1
		.amdhsa_system_sgpr_workgroup_id_y 0
		.amdhsa_system_sgpr_workgroup_id_z 0
		.amdhsa_system_sgpr_workgroup_info 0
		.amdhsa_system_vgpr_workitem_id 0
		.amdhsa_next_free_vgpr 7
		.amdhsa_next_free_sgpr 16
		.amdhsa_reserve_vcc 1
		.amdhsa_float_round_mode_32 0
		.amdhsa_float_round_mode_16_64 0
		.amdhsa_float_denorm_mode_32 3
		.amdhsa_float_denorm_mode_16_64 3
		.amdhsa_dx10_clamp 1
		.amdhsa_ieee_mode 1
		.amdhsa_fp16_overflow 0
		.amdhsa_workgroup_processor_mode 1
		.amdhsa_memory_ordered 1
		.amdhsa_forward_progress 0
		.amdhsa_shared_vgpr_count 0
		.amdhsa_exception_fp_ieee_invalid_op 0
		.amdhsa_exception_fp_denorm_src 0
		.amdhsa_exception_fp_ieee_div_zero 0
		.amdhsa_exception_fp_ieee_overflow 0
		.amdhsa_exception_fp_ieee_underflow 0
		.amdhsa_exception_fp_ieee_inexact 0
		.amdhsa_exception_int_div_zero 0
	.end_amdhsa_kernel
	.section	.text._Z17shuffle_up_kernelILj64E16custom_16alignedEvPT0_j,"axG",@progbits,_Z17shuffle_up_kernelILj64E16custom_16alignedEvPT0_j,comdat
.Lfunc_end49:
	.size	_Z17shuffle_up_kernelILj64E16custom_16alignedEvPT0_j, .Lfunc_end49-_Z17shuffle_up_kernelILj64E16custom_16alignedEvPT0_j
                                        ; -- End function
	.section	.AMDGPU.csdata,"",@progbits
; Kernel info:
; codeLenInByte = 168
; NumSgprs: 18
; NumVgprs: 7
; ScratchSize: 0
; MemoryBound: 0
; FloatMode: 240
; IeeeMode: 1
; LDSByteSize: 0 bytes/workgroup (compile time only)
; SGPRBlocks: 2
; VGPRBlocks: 0
; NumSGPRsForWavesPerEU: 18
; NumVGPRsForWavesPerEU: 7
; Occupancy: 16
; WaveLimiterHint : 0
; COMPUTE_PGM_RSRC2:SCRATCH_EN: 0
; COMPUTE_PGM_RSRC2:USER_SGPR: 15
; COMPUTE_PGM_RSRC2:TRAP_HANDLER: 0
; COMPUTE_PGM_RSRC2:TGID_X_EN: 1
; COMPUTE_PGM_RSRC2:TGID_Y_EN: 0
; COMPUTE_PGM_RSRC2:TGID_Z_EN: 0
; COMPUTE_PGM_RSRC2:TIDIG_COMP_CNT: 0
	.section	.text._Z21device_test_warp_maskILj1EEvP10TestStatus,"axG",@progbits,_Z21device_test_warp_maskILj1EEvP10TestStatus,comdat
	.protected	_Z21device_test_warp_maskILj1EEvP10TestStatus ; -- Begin function _Z21device_test_warp_maskILj1EEvP10TestStatus
	.globl	_Z21device_test_warp_maskILj1EEvP10TestStatus
	.p2align	8
	.type	_Z21device_test_warp_maskILj1EEvP10TestStatus,@function
_Z21device_test_warp_maskILj1EEvP10TestStatus: ; @_Z21device_test_warp_maskILj1EEvP10TestStatus
; %bb.0:
	v_mbcnt_lo_u32_b32 v5, -1, 0
	s_mov_b32 s5, 0
	s_mov_b32 s2, -1
	s_mov_b32 s4, exec_lo
                                        ; implicit-def: $sgpr3
	s_delay_alu instid0(VALU_DEP_1)
	v_lshlrev_b64 v[1:2], v5, 1
	v_cmpx_ne_u32_e32 0, v5
	s_cbranch_execnz .LBB50_3
; %bb.1:
	s_or_b32 exec_lo, exec_lo, s4
	v_mov_b32_e32 v3, s3
	s_and_saveexec_b32 s4, s2
	s_cbranch_execnz .LBB50_8
.LBB50_2:
	s_or_b32 exec_lo, exec_lo, s4
	s_load_b64 s[0:1], s[0:1], 0x0
	s_waitcnt lgkmcnt(0)
	global_store_b8 v0, v3, s[0:1]
	s_nop 0
	s_sendmsg sendmsg(MSG_DEALLOC_VGPRS)
	s_endpgm
.LBB50_3:
	v_mov_b32_e32 v4, 0
	s_mov_b64 s[2:3], 0
                                        ; implicit-def: $sgpr6
                                        ; implicit-def: $sgpr8
                                        ; implicit-def: $sgpr7
	s_set_inst_prefetch_distance 0x1
	s_branch .LBB50_5
	.p2align	6
.LBB50_4:                               ;   in Loop: Header=BB50_5 Depth=1
	s_or_b32 exec_lo, exec_lo, s9
	s_xor_b32 s9, s7, -1
	s_and_b32 s10, exec_lo, s8
	s_delay_alu instid0(SALU_CYCLE_1) | instskip(SKIP_2) | instid1(SALU_CYCLE_1)
	s_or_b32 s5, s10, s5
	s_and_not1_b32 s6, s6, exec_lo
	s_and_b32 s9, s9, exec_lo
	s_or_b32 s6, s6, s9
	s_and_not1_b32 exec_lo, exec_lo, s5
	s_cbranch_execz .LBB50_7
.LBB50_5:                               ; =>This Inner Loop Header: Depth=1
	v_lshrrev_b64 v[6:7], s2, v[1:2]
	s_or_b32 s7, s7, exec_lo
	s_or_b32 s8, s8, exec_lo
	s_mov_b32 s9, exec_lo
	s_delay_alu instid0(VALU_DEP_1) | instskip(NEXT) | instid1(VALU_DEP_1)
	v_and_b32_e32 v3, 1, v6
	v_cmpx_eq_u64_e32 0, v[3:4]
	s_cbranch_execz .LBB50_4
; %bb.6:                                ;   in Loop: Header=BB50_5 Depth=1
	s_add_u32 s2, s2, 1
	s_addc_u32 s3, s3, 0
	v_cmp_eq_u32_e32 vcc_lo, s2, v5
	s_and_not1_b32 s8, s8, exec_lo
	s_and_not1_b32 s7, s7, exec_lo
	s_and_b32 s10, vcc_lo, exec_lo
	s_delay_alu instid0(SALU_CYCLE_1)
	s_or_b32 s8, s8, s10
	s_branch .LBB50_4
.LBB50_7:
	s_set_inst_prefetch_distance 0x2
	s_or_b32 exec_lo, exec_lo, s5
	s_mov_b32 s3, 0
	s_or_not1_b32 s2, s6, exec_lo
	s_or_b32 exec_lo, exec_lo, s4
	v_mov_b32_e32 v3, s3
	s_and_saveexec_b32 s4, s2
	s_cbranch_execz .LBB50_2
.LBB50_8:
	v_add_nc_u32_e32 v3, 1, v5
	s_mov_b32 s2, -1
	s_mov_b32 s5, exec_lo
	s_delay_alu instid0(VALU_DEP_1)
	v_cmpx_gt_u32_e32 64, v3
	s_cbranch_execz .LBB50_12
; %bb.9:
	v_mov_b32_e32 v4, 0
	s_mov_b32 s6, 0
                                        ; implicit-def: $sgpr7
	.p2align	6
.LBB50_10:                              ; =>This Inner Loop Header: Depth=1
	v_lshlrev_b64 v[5:6], v3, 1
	v_cmp_lt_u32_e32 vcc_lo, 62, v3
	v_add_co_u32 v3, s3, v3, 1
	s_delay_alu instid0(VALU_DEP_1) | instskip(NEXT) | instid1(VALU_DEP_4)
	v_add_co_ci_u32_e64 v4, s3, 0, v4, s3
	v_and_b32_e32 v6, v6, v2
	v_and_b32_e32 v5, v5, v1
	s_delay_alu instid0(VALU_DEP_1) | instskip(SKIP_1) | instid1(VALU_DEP_2)
	v_cmp_ne_u64_e64 s2, 0, v[5:6]
	v_cmp_eq_u64_e64 s3, 0, v[5:6]
	s_or_b32 s2, vcc_lo, s2
	s_delay_alu instid0(SALU_CYCLE_1) | instskip(NEXT) | instid1(SALU_CYCLE_1)
	s_and_b32 s2, exec_lo, s2
	s_or_b32 s6, s2, s6
	s_and_not1_b32 s2, s7, exec_lo
	s_delay_alu instid0(VALU_DEP_1) | instskip(NEXT) | instid1(SALU_CYCLE_1)
	s_and_b32 s3, s3, exec_lo
	s_or_b32 s7, s2, s3
	s_and_not1_b32 exec_lo, exec_lo, s6
	s_cbranch_execnz .LBB50_10
; %bb.11:
	s_or_b32 exec_lo, exec_lo, s6
	s_delay_alu instid0(SALU_CYCLE_1)
	s_or_not1_b32 s2, s7, exec_lo
.LBB50_12:
	s_or_b32 exec_lo, exec_lo, s5
	v_cndmask_b32_e64 v3, 0, 1, s2
	s_or_b32 exec_lo, exec_lo, s4
	s_load_b64 s[0:1], s[0:1], 0x0
	s_waitcnt lgkmcnt(0)
	global_store_b8 v0, v3, s[0:1]
	s_nop 0
	s_sendmsg sendmsg(MSG_DEALLOC_VGPRS)
	s_endpgm
	.section	.rodata,"a",@progbits
	.p2align	6, 0x0
	.amdhsa_kernel _Z21device_test_warp_maskILj1EEvP10TestStatus
		.amdhsa_group_segment_fixed_size 0
		.amdhsa_private_segment_fixed_size 0
		.amdhsa_kernarg_size 8
		.amdhsa_user_sgpr_count 15
		.amdhsa_user_sgpr_dispatch_ptr 0
		.amdhsa_user_sgpr_queue_ptr 0
		.amdhsa_user_sgpr_kernarg_segment_ptr 1
		.amdhsa_user_sgpr_dispatch_id 0
		.amdhsa_user_sgpr_private_segment_size 0
		.amdhsa_wavefront_size32 1
		.amdhsa_uses_dynamic_stack 0
		.amdhsa_enable_private_segment 0
		.amdhsa_system_sgpr_workgroup_id_x 1
		.amdhsa_system_sgpr_workgroup_id_y 0
		.amdhsa_system_sgpr_workgroup_id_z 0
		.amdhsa_system_sgpr_workgroup_info 0
		.amdhsa_system_vgpr_workitem_id 0
		.amdhsa_next_free_vgpr 8
		.amdhsa_next_free_sgpr 11
		.amdhsa_reserve_vcc 1
		.amdhsa_float_round_mode_32 0
		.amdhsa_float_round_mode_16_64 0
		.amdhsa_float_denorm_mode_32 3
		.amdhsa_float_denorm_mode_16_64 3
		.amdhsa_dx10_clamp 1
		.amdhsa_ieee_mode 1
		.amdhsa_fp16_overflow 0
		.amdhsa_workgroup_processor_mode 1
		.amdhsa_memory_ordered 1
		.amdhsa_forward_progress 0
		.amdhsa_shared_vgpr_count 0
		.amdhsa_exception_fp_ieee_invalid_op 0
		.amdhsa_exception_fp_denorm_src 0
		.amdhsa_exception_fp_ieee_div_zero 0
		.amdhsa_exception_fp_ieee_overflow 0
		.amdhsa_exception_fp_ieee_underflow 0
		.amdhsa_exception_fp_ieee_inexact 0
		.amdhsa_exception_int_div_zero 0
	.end_amdhsa_kernel
	.section	.text._Z21device_test_warp_maskILj1EEvP10TestStatus,"axG",@progbits,_Z21device_test_warp_maskILj1EEvP10TestStatus,comdat
.Lfunc_end50:
	.size	_Z21device_test_warp_maskILj1EEvP10TestStatus, .Lfunc_end50-_Z21device_test_warp_maskILj1EEvP10TestStatus
                                        ; -- End function
	.section	.AMDGPU.csdata,"",@progbits
; Kernel info:
; codeLenInByte = 444
; NumSgprs: 13
; NumVgprs: 8
; ScratchSize: 0
; MemoryBound: 0
; FloatMode: 240
; IeeeMode: 1
; LDSByteSize: 0 bytes/workgroup (compile time only)
; SGPRBlocks: 1
; VGPRBlocks: 0
; NumSGPRsForWavesPerEU: 13
; NumVGPRsForWavesPerEU: 8
; Occupancy: 16
; WaveLimiterHint : 0
; COMPUTE_PGM_RSRC2:SCRATCH_EN: 0
; COMPUTE_PGM_RSRC2:USER_SGPR: 15
; COMPUTE_PGM_RSRC2:TRAP_HANDLER: 0
; COMPUTE_PGM_RSRC2:TGID_X_EN: 1
; COMPUTE_PGM_RSRC2:TGID_Y_EN: 0
; COMPUTE_PGM_RSRC2:TGID_Z_EN: 0
; COMPUTE_PGM_RSRC2:TIDIG_COMP_CNT: 0
	.section	.text._Z21device_test_warp_maskILj2EEvP10TestStatus,"axG",@progbits,_Z21device_test_warp_maskILj2EEvP10TestStatus,comdat
	.protected	_Z21device_test_warp_maskILj2EEvP10TestStatus ; -- Begin function _Z21device_test_warp_maskILj2EEvP10TestStatus
	.globl	_Z21device_test_warp_maskILj2EEvP10TestStatus
	.p2align	8
	.type	_Z21device_test_warp_maskILj2EEvP10TestStatus,@function
_Z21device_test_warp_maskILj2EEvP10TestStatus: ; @_Z21device_test_warp_maskILj2EEvP10TestStatus
; %bb.0:
	v_mbcnt_lo_u32_b32 v6, -1, 0
	s_mov_b32 s5, 0
	s_mov_b32 s2, -1
	s_mov_b32 s4, exec_lo
                                        ; implicit-def: $sgpr3
	s_delay_alu instid0(VALU_DEP_1) | instskip(NEXT) | instid1(VALU_DEP_1)
	v_and_b32_e32 v5, 30, v6
	v_lshlrev_b64 v[1:2], v5, 3
	v_cmpx_ne_u32_e32 0, v5
	s_cbranch_execnz .LBB51_3
; %bb.1:
	s_or_b32 exec_lo, exec_lo, s4
	v_mov_b32_e32 v3, s3
	s_and_saveexec_b32 s4, s2
	s_cbranch_execnz .LBB51_8
.LBB51_2:
	s_or_b32 exec_lo, exec_lo, s4
	s_load_b64 s[0:1], s[0:1], 0x0
	s_waitcnt lgkmcnt(0)
	global_store_b8 v0, v3, s[0:1]
	s_nop 0
	s_sendmsg sendmsg(MSG_DEALLOC_VGPRS)
	s_endpgm
.LBB51_3:
	v_mov_b32_e32 v4, 0
	s_mov_b64 s[2:3], 0
                                        ; implicit-def: $sgpr6
                                        ; implicit-def: $sgpr8
                                        ; implicit-def: $sgpr7
	s_set_inst_prefetch_distance 0x1
	s_branch .LBB51_5
	.p2align	6
.LBB51_4:                               ;   in Loop: Header=BB51_5 Depth=1
	s_or_b32 exec_lo, exec_lo, s9
	s_xor_b32 s9, s7, -1
	s_and_b32 s10, exec_lo, s8
	s_delay_alu instid0(SALU_CYCLE_1) | instskip(SKIP_2) | instid1(SALU_CYCLE_1)
	s_or_b32 s5, s10, s5
	s_and_not1_b32 s6, s6, exec_lo
	s_and_b32 s9, s9, exec_lo
	s_or_b32 s6, s6, s9
	s_and_not1_b32 exec_lo, exec_lo, s5
	s_cbranch_execz .LBB51_7
.LBB51_5:                               ; =>This Inner Loop Header: Depth=1
	v_lshrrev_b64 v[7:8], s2, v[1:2]
	s_or_b32 s7, s7, exec_lo
	s_or_b32 s8, s8, exec_lo
	s_mov_b32 s9, exec_lo
	s_delay_alu instid0(VALU_DEP_1) | instskip(NEXT) | instid1(VALU_DEP_1)
	v_and_b32_e32 v3, 1, v7
	v_cmpx_eq_u64_e32 0, v[3:4]
	s_cbranch_execz .LBB51_4
; %bb.6:                                ;   in Loop: Header=BB51_5 Depth=1
	s_add_u32 s2, s2, 1
	s_addc_u32 s3, s3, 0
	v_cmp_eq_u32_e32 vcc_lo, s2, v5
	s_and_not1_b32 s8, s8, exec_lo
	s_and_not1_b32 s7, s7, exec_lo
	s_and_b32 s10, vcc_lo, exec_lo
	s_delay_alu instid0(SALU_CYCLE_1)
	s_or_b32 s8, s8, s10
	s_branch .LBB51_4
.LBB51_7:
	s_set_inst_prefetch_distance 0x2
	s_or_b32 exec_lo, exec_lo, s5
	s_mov_b32 s3, 0
	s_or_not1_b32 s2, s6, exec_lo
	s_or_b32 exec_lo, exec_lo, s4
	v_mov_b32_e32 v3, s3
	s_and_saveexec_b32 s4, s2
	s_cbranch_execz .LBB51_2
.LBB51_8:
	v_cmp_lt_u32_e64 s2, -3, v6
	s_mov_b32 s3, exec_lo
                                        ; implicit-def: $sgpr5
	v_cmpx_gt_u32_e32 -2, v6
; %bb.9:
	v_or_b32_e32 v3, 1, v6
	s_delay_alu instid0(VALU_DEP_3) | instskip(SKIP_1) | instid1(VALU_DEP_1)
	s_and_not1_b32 s2, s2, exec_lo
	s_mov_b32 s5, 0
	v_lshrrev_b32_e32 v3, v3, v1
	s_delay_alu instid0(VALU_DEP_1) | instskip(NEXT) | instid1(VALU_DEP_1)
	v_and_b32_e32 v3, 1, v3
	v_cmp_eq_u32_e32 vcc_lo, 1, v3
	s_and_b32 s6, vcc_lo, exec_lo
	s_delay_alu instid0(SALU_CYCLE_1)
	s_or_b32 s2, s2, s6
; %bb.10:
	s_or_b32 exec_lo, exec_lo, s3
	v_mov_b32_e32 v3, s5
	s_and_saveexec_b32 s5, s2
	s_cbranch_execz .LBB51_16
; %bb.11:
	v_add_nc_u32_e32 v3, 2, v5
	s_mov_b32 s2, -1
	s_mov_b32 s6, exec_lo
	s_delay_alu instid0(VALU_DEP_1)
	v_cmpx_gt_u32_e32 64, v3
	s_cbranch_execz .LBB51_15
; %bb.12:
	v_mov_b32_e32 v4, 0
	s_mov_b32 s7, 0
                                        ; implicit-def: $sgpr8
	.p2align	6
.LBB51_13:                              ; =>This Inner Loop Header: Depth=1
	v_lshlrev_b64 v[5:6], v3, 1
	v_cmp_lt_u32_e32 vcc_lo, 62, v3
	v_add_co_u32 v3, s3, v3, 1
	s_delay_alu instid0(VALU_DEP_1) | instskip(NEXT) | instid1(VALU_DEP_4)
	v_add_co_ci_u32_e64 v4, s3, 0, v4, s3
	v_and_b32_e32 v6, v6, v2
	v_and_b32_e32 v5, v5, v1
	s_delay_alu instid0(VALU_DEP_1) | instskip(SKIP_1) | instid1(VALU_DEP_2)
	v_cmp_ne_u64_e64 s2, 0, v[5:6]
	v_cmp_eq_u64_e64 s3, 0, v[5:6]
	s_or_b32 s2, vcc_lo, s2
	s_delay_alu instid0(SALU_CYCLE_1) | instskip(NEXT) | instid1(SALU_CYCLE_1)
	s_and_b32 s2, exec_lo, s2
	s_or_b32 s7, s2, s7
	s_and_not1_b32 s2, s8, exec_lo
	s_delay_alu instid0(VALU_DEP_1) | instskip(NEXT) | instid1(SALU_CYCLE_1)
	s_and_b32 s3, s3, exec_lo
	s_or_b32 s8, s2, s3
	s_and_not1_b32 exec_lo, exec_lo, s7
	s_cbranch_execnz .LBB51_13
; %bb.14:
	s_or_b32 exec_lo, exec_lo, s7
	s_delay_alu instid0(SALU_CYCLE_1)
	s_or_not1_b32 s2, s8, exec_lo
.LBB51_15:
	s_or_b32 exec_lo, exec_lo, s6
	v_cndmask_b32_e64 v3, 0, 1, s2
.LBB51_16:
	s_or_b32 exec_lo, exec_lo, s5
	s_delay_alu instid0(SALU_CYCLE_1)
	s_or_b32 exec_lo, exec_lo, s4
	s_load_b64 s[0:1], s[0:1], 0x0
	s_waitcnt lgkmcnt(0)
	global_store_b8 v0, v3, s[0:1]
	s_nop 0
	s_sendmsg sendmsg(MSG_DEALLOC_VGPRS)
	s_endpgm
	.section	.rodata,"a",@progbits
	.p2align	6, 0x0
	.amdhsa_kernel _Z21device_test_warp_maskILj2EEvP10TestStatus
		.amdhsa_group_segment_fixed_size 0
		.amdhsa_private_segment_fixed_size 0
		.amdhsa_kernarg_size 8
		.amdhsa_user_sgpr_count 15
		.amdhsa_user_sgpr_dispatch_ptr 0
		.amdhsa_user_sgpr_queue_ptr 0
		.amdhsa_user_sgpr_kernarg_segment_ptr 1
		.amdhsa_user_sgpr_dispatch_id 0
		.amdhsa_user_sgpr_private_segment_size 0
		.amdhsa_wavefront_size32 1
		.amdhsa_uses_dynamic_stack 0
		.amdhsa_enable_private_segment 0
		.amdhsa_system_sgpr_workgroup_id_x 1
		.amdhsa_system_sgpr_workgroup_id_y 0
		.amdhsa_system_sgpr_workgroup_id_z 0
		.amdhsa_system_sgpr_workgroup_info 0
		.amdhsa_system_vgpr_workitem_id 0
		.amdhsa_next_free_vgpr 9
		.amdhsa_next_free_sgpr 11
		.amdhsa_reserve_vcc 1
		.amdhsa_float_round_mode_32 0
		.amdhsa_float_round_mode_16_64 0
		.amdhsa_float_denorm_mode_32 3
		.amdhsa_float_denorm_mode_16_64 3
		.amdhsa_dx10_clamp 1
		.amdhsa_ieee_mode 1
		.amdhsa_fp16_overflow 0
		.amdhsa_workgroup_processor_mode 1
		.amdhsa_memory_ordered 1
		.amdhsa_forward_progress 0
		.amdhsa_shared_vgpr_count 0
		.amdhsa_exception_fp_ieee_invalid_op 0
		.amdhsa_exception_fp_denorm_src 0
		.amdhsa_exception_fp_ieee_div_zero 0
		.amdhsa_exception_fp_ieee_overflow 0
		.amdhsa_exception_fp_ieee_underflow 0
		.amdhsa_exception_fp_ieee_inexact 0
		.amdhsa_exception_int_div_zero 0
	.end_amdhsa_kernel
	.section	.text._Z21device_test_warp_maskILj2EEvP10TestStatus,"axG",@progbits,_Z21device_test_warp_maskILj2EEvP10TestStatus,comdat
.Lfunc_end51:
	.size	_Z21device_test_warp_maskILj2EEvP10TestStatus, .Lfunc_end51-_Z21device_test_warp_maskILj2EEvP10TestStatus
                                        ; -- End function
	.section	.AMDGPU.csdata,"",@progbits
; Kernel info:
; codeLenInByte = 532
; NumSgprs: 13
; NumVgprs: 9
; ScratchSize: 0
; MemoryBound: 0
; FloatMode: 240
; IeeeMode: 1
; LDSByteSize: 0 bytes/workgroup (compile time only)
; SGPRBlocks: 1
; VGPRBlocks: 1
; NumSGPRsForWavesPerEU: 13
; NumVGPRsForWavesPerEU: 9
; Occupancy: 16
; WaveLimiterHint : 0
; COMPUTE_PGM_RSRC2:SCRATCH_EN: 0
; COMPUTE_PGM_RSRC2:USER_SGPR: 15
; COMPUTE_PGM_RSRC2:TRAP_HANDLER: 0
; COMPUTE_PGM_RSRC2:TGID_X_EN: 1
; COMPUTE_PGM_RSRC2:TGID_Y_EN: 0
; COMPUTE_PGM_RSRC2:TGID_Z_EN: 0
; COMPUTE_PGM_RSRC2:TIDIG_COMP_CNT: 0
	.section	.text._Z21device_test_warp_maskILj3EEvP10TestStatus,"axG",@progbits,_Z21device_test_warp_maskILj3EEvP10TestStatus,comdat
	.protected	_Z21device_test_warp_maskILj3EEvP10TestStatus ; -- Begin function _Z21device_test_warp_maskILj3EEvP10TestStatus
	.globl	_Z21device_test_warp_maskILj3EEvP10TestStatus
	.p2align	8
	.type	_Z21device_test_warp_maskILj3EEvP10TestStatus,@function
_Z21device_test_warp_maskILj3EEvP10TestStatus: ; @_Z21device_test_warp_maskILj3EEvP10TestStatus
; %bb.0:
	s_mov_b32 s19, 3
	s_mov_b64 s[16:17], 11
	s_mov_b32 s11, 0
	s_branch .LBB52_3
.LBB52_1:                               ;   in Loop: Header=BB52_3 Depth=1
	s_add_i32 s10, s19, 4
	s_mov_b32 s25, -1
                                        ; implicit-def: $sgpr19
                                        ; implicit-def: $sgpr16_sgpr17
                                        ; implicit-def: $sgpr12_sgpr13
                                        ; implicit-def: $sgpr14_sgpr15
.LBB52_2:                               ;   in Loop: Header=BB52_3 Depth=1
	s_and_b32 vcc_lo, exec_lo, s28
	s_cbranch_vccnz .LBB52_14
.LBB52_3:                               ; =>This Inner Loop Header: Depth=1
	s_mov_b64 s[2:3], s[16:17]
	s_mov_b32 s26, 0
	s_add_u32 s18, s2, -7
	s_mov_b32 s27, 0
	s_lshl_b64 s[4:5], 1, s18
	s_mov_b32 s24, 0
	s_and_b32 s10, s4, 6
	s_mov_b32 s25, 0
	s_cmp_lg_u64 s[10:11], 0
	s_mov_b32 s23, 0
	s_mov_b32 s22, 0
	;; [unrolled: 1-line block ×3, first 2 shown]
	s_mov_b32 s21, -1
	s_mov_b32 s28, -1
                                        ; implicit-def: $sgpr16_sgpr17
                                        ; implicit-def: $sgpr10
                                        ; implicit-def: $sgpr4_sgpr5
                                        ; implicit-def: $sgpr6_sgpr7
                                        ; implicit-def: $sgpr8_sgpr9
                                        ; implicit-def: $sgpr12_sgpr13
                                        ; implicit-def: $sgpr14_sgpr15
	s_cbranch_scc1 .LBB52_2
; %bb.4:                                ;   in Loop: Header=BB52_3 Depth=1
	s_add_u32 s4, s2, -6
	s_mov_b32 s20, -1
	s_lshl_b64 s[6:7], 1, s4
	s_mov_b32 s21, 0
	s_and_b32 s10, s6, 6
                                        ; implicit-def: $sgpr16_sgpr17
                                        ; implicit-def: $sgpr6_sgpr7
                                        ; implicit-def: $sgpr8_sgpr9
                                        ; implicit-def: $sgpr12_sgpr13
                                        ; implicit-def: $sgpr14_sgpr15
	s_delay_alu instid0(SALU_CYCLE_1)
	s_cmp_eq_u64 s[10:11], 0
                                        ; implicit-def: $sgpr10
	s_cbranch_scc0 .LBB52_2
; %bb.5:                                ;   in Loop: Header=BB52_3 Depth=1
	s_add_u32 s6, s2, -5
	s_mov_b32 s22, -1
	s_lshl_b64 s[8:9], 1, s6
	s_mov_b32 s20, 0
	s_and_b32 s10, s8, 6
                                        ; implicit-def: $sgpr16_sgpr17
                                        ; implicit-def: $sgpr8_sgpr9
                                        ; implicit-def: $sgpr12_sgpr13
                                        ; implicit-def: $sgpr14_sgpr15
	s_delay_alu instid0(SALU_CYCLE_1)
	s_cmp_eq_u64 s[10:11], 0
                                        ; implicit-def: $sgpr10
	s_cbranch_scc0 .LBB52_2
; %bb.6:                                ;   in Loop: Header=BB52_3 Depth=1
	s_add_u32 s8, s2, -4
	s_mov_b32 s23, -1
	s_lshl_b64 s[12:13], 1, s8
	s_mov_b32 s22, 0
	s_and_b32 s10, s12, 6
                                        ; implicit-def: $sgpr16_sgpr17
                                        ; implicit-def: $sgpr12_sgpr13
                                        ; implicit-def: $sgpr14_sgpr15
	s_delay_alu instid0(SALU_CYCLE_1)
	s_cmp_eq_u64 s[10:11], 0
                                        ; implicit-def: $sgpr10
	s_cbranch_scc0 .LBB52_2
; %bb.7:                                ;   in Loop: Header=BB52_3 Depth=1
	s_cmpk_lg_i32 s2, 0x43
	s_mov_b32 s23, 0
	s_cbranch_scc0 .LBB52_1
; %bb.8:                                ;   in Loop: Header=BB52_3 Depth=1
	s_add_u32 s12, s2, -3
	s_mov_b32 s24, -1
	s_lshl_b64 s[14:15], 1, s12
                                        ; implicit-def: $sgpr16_sgpr17
	s_delay_alu instid0(SALU_CYCLE_1) | instskip(NEXT) | instid1(SALU_CYCLE_1)
	s_and_b32 s10, s14, 6
                                        ; implicit-def: $sgpr14_sgpr15
	s_cmp_eq_u64 s[10:11], 0
	s_cbranch_scc0 .LBB52_10
; %bb.9:                                ;   in Loop: Header=BB52_3 Depth=1
	s_add_u32 s14, s2, -2
	s_mov_b32 s27, -1
	s_lshl_b64 s[16:17], 1, s14
	s_mov_b32 s24, 0
	s_and_b32 s10, s16, 6
                                        ; implicit-def: $sgpr16_sgpr17
	s_delay_alu instid0(SALU_CYCLE_1)
	s_cmp_eq_u64 s[10:11], 0
	s_cbranch_scc1 .LBB52_11
.LBB52_10:                              ;   in Loop: Header=BB52_3 Depth=1
                                        ; implicit-def: $sgpr10
	s_branch .LBB52_2
.LBB52_11:                              ;   in Loop: Header=BB52_3 Depth=1
	s_add_i32 s5, s2, -1
	s_mov_b32 s26, -1
	s_lshl_b64 s[16:17], 1, s5
	s_delay_alu instid0(SALU_CYCLE_1) | instskip(NEXT) | instid1(SALU_CYCLE_1)
	s_and_b32 s10, s16, 6
                                        ; implicit-def: $sgpr16_sgpr17
	s_cmp_eq_u64 s[10:11], 0
	s_cbranch_scc1 .LBB52_13
; %bb.12:                               ;   in Loop: Header=BB52_3 Depth=1
	s_mov_b32 s27, 0
                                        ; implicit-def: $sgpr10
	s_branch .LBB52_2
.LBB52_13:                              ;   in Loop: Header=BB52_3 Depth=1
	s_lshl_b64 s[16:17], 1, s2
	s_add_i32 s19, s19, 8
	s_and_b32 s10, s16, 6
	s_mov_b32 s26, 0
	s_cmp_lg_u64 s[10:11], 0
	s_mov_b32 s27, 0
	s_cselect_b32 s28, -1, 0
	s_add_u32 s16, s2, 8
	s_addc_u32 s17, s3, 0
                                        ; implicit-def: $sgpr10
	s_branch .LBB52_2
.LBB52_14:
	s_and_b32 vcc_lo, exec_lo, s21
	s_mov_b32 s3, -1
	s_cbranch_vccnz .LBB52_44
; %bb.15:
	s_xor_b32 s3, s20, -1
	s_delay_alu instid0(SALU_CYCLE_1)
	s_and_not1_b32 vcc_lo, exec_lo, s3
	s_cbranch_vccnz .LBB52_23
; %bb.16:
	s_xor_b32 s3, s22, -1
	s_delay_alu instid0(SALU_CYCLE_1)
	s_and_not1_b32 vcc_lo, exec_lo, s3
	;; [unrolled: 5-line block ×6, first 2 shown]
	s_cbranch_vccnz .LBB52_27
; %bb.21:
	s_xor_b32 s3, s26, -1
	s_delay_alu instid0(SALU_CYCLE_1)
	s_and_b32 vcc_lo, exec_lo, s3
	s_cbranch_vccz .LBB52_28
; %bb.22:
	s_add_i32 s10, s16, -9
	s_mov_b32 s3, 0
	s_branch .LBB52_29
.LBB52_23:
                                        ; implicit-def: $sgpr10
	s_branch .LBB52_42
.LBB52_24:
                                        ; implicit-def: $sgpr10
	s_branch .LBB52_40
.LBB52_25:
                                        ; implicit-def: $sgpr10
	s_branch .LBB52_38
.LBB52_26:
	s_mov_b32 s3, -1
                                        ; implicit-def: $sgpr10
	s_branch .LBB52_35
.LBB52_27:
	s_mov_b32 s3, -1
                                        ; implicit-def: $sgpr10
	s_branch .LBB52_32
.LBB52_28:
	s_mov_b32 s3, -1
                                        ; implicit-def: $sgpr10
.LBB52_29:
	s_delay_alu instid0(SALU_CYCLE_1)
	s_and_not1_b32 vcc_lo, exec_lo, s3
	s_cbranch_vccnz .LBB52_31
; %bb.30:
	s_mov_b32 s10, s14
.LBB52_31:
	s_mov_b32 s3, 0
.LBB52_32:
	s_delay_alu instid0(SALU_CYCLE_1)
	s_and_not1_b32 vcc_lo, exec_lo, s3
	s_cbranch_vccnz .LBB52_34
; %bb.33:
	s_mov_b32 s10, s12
.LBB52_34:
	s_mov_b32 s3, 0
.LBB52_35:
	s_delay_alu instid0(SALU_CYCLE_1)
	s_and_not1_b32 vcc_lo, exec_lo, s3
	s_cbranch_vccnz .LBB52_37
; %bb.36:
	s_mov_b32 s10, s8
.LBB52_37:
	s_cbranch_execnz .LBB52_39
.LBB52_38:
	s_mov_b32 s10, s6
.LBB52_39:
	s_cbranch_execnz .LBB52_41
.LBB52_40:
	s_mov_b32 s10, s4
.LBB52_41:
	s_cbranch_execnz .LBB52_43
.LBB52_42:
	s_mov_b32 s10, s18
.LBB52_43:
	s_mov_b32 s3, 0
.LBB52_44:
	s_delay_alu instid0(SALU_CYCLE_1)
	s_and_not1_b32 vcc_lo, exec_lo, s3
	s_cbranch_vccnz .LBB52_46
; %bb.45:
	s_add_i32 s10, s2, -8
.LBB52_46:
	s_load_b64 s[0:1], s[0:1], 0x0
	s_cmp_gt_u32 s10, 62
	s_cselect_b32 s2, -1, 0
	s_delay_alu instid0(SALU_CYCLE_1)
	v_cndmask_b32_e64 v1, 0, 1, s2
	s_waitcnt lgkmcnt(0)
	global_store_b8 v0, v1, s[0:1]
	s_nop 0
	s_sendmsg sendmsg(MSG_DEALLOC_VGPRS)
	s_endpgm
	.section	.rodata,"a",@progbits
	.p2align	6, 0x0
	.amdhsa_kernel _Z21device_test_warp_maskILj3EEvP10TestStatus
		.amdhsa_group_segment_fixed_size 0
		.amdhsa_private_segment_fixed_size 0
		.amdhsa_kernarg_size 8
		.amdhsa_user_sgpr_count 15
		.amdhsa_user_sgpr_dispatch_ptr 0
		.amdhsa_user_sgpr_queue_ptr 0
		.amdhsa_user_sgpr_kernarg_segment_ptr 1
		.amdhsa_user_sgpr_dispatch_id 0
		.amdhsa_user_sgpr_private_segment_size 0
		.amdhsa_wavefront_size32 1
		.amdhsa_uses_dynamic_stack 0
		.amdhsa_enable_private_segment 0
		.amdhsa_system_sgpr_workgroup_id_x 1
		.amdhsa_system_sgpr_workgroup_id_y 0
		.amdhsa_system_sgpr_workgroup_id_z 0
		.amdhsa_system_sgpr_workgroup_info 0
		.amdhsa_system_vgpr_workitem_id 0
		.amdhsa_next_free_vgpr 2
		.amdhsa_next_free_sgpr 29
		.amdhsa_reserve_vcc 1
		.amdhsa_float_round_mode_32 0
		.amdhsa_float_round_mode_16_64 0
		.amdhsa_float_denorm_mode_32 3
		.amdhsa_float_denorm_mode_16_64 3
		.amdhsa_dx10_clamp 1
		.amdhsa_ieee_mode 1
		.amdhsa_fp16_overflow 0
		.amdhsa_workgroup_processor_mode 1
		.amdhsa_memory_ordered 1
		.amdhsa_forward_progress 0
		.amdhsa_shared_vgpr_count 0
		.amdhsa_exception_fp_ieee_invalid_op 0
		.amdhsa_exception_fp_denorm_src 0
		.amdhsa_exception_fp_ieee_div_zero 0
		.amdhsa_exception_fp_ieee_overflow 0
		.amdhsa_exception_fp_ieee_underflow 0
		.amdhsa_exception_fp_ieee_inexact 0
		.amdhsa_exception_int_div_zero 0
	.end_amdhsa_kernel
	.section	.text._Z21device_test_warp_maskILj3EEvP10TestStatus,"axG",@progbits,_Z21device_test_warp_maskILj3EEvP10TestStatus,comdat
.Lfunc_end52:
	.size	_Z21device_test_warp_maskILj3EEvP10TestStatus, .Lfunc_end52-_Z21device_test_warp_maskILj3EEvP10TestStatus
                                        ; -- End function
	.section	.AMDGPU.csdata,"",@progbits
; Kernel info:
; codeLenInByte = 660
; NumSgprs: 31
; NumVgprs: 2
; ScratchSize: 0
; MemoryBound: 0
; FloatMode: 240
; IeeeMode: 1
; LDSByteSize: 0 bytes/workgroup (compile time only)
; SGPRBlocks: 3
; VGPRBlocks: 0
; NumSGPRsForWavesPerEU: 31
; NumVGPRsForWavesPerEU: 2
; Occupancy: 16
; WaveLimiterHint : 0
; COMPUTE_PGM_RSRC2:SCRATCH_EN: 0
; COMPUTE_PGM_RSRC2:USER_SGPR: 15
; COMPUTE_PGM_RSRC2:TRAP_HANDLER: 0
; COMPUTE_PGM_RSRC2:TGID_X_EN: 1
; COMPUTE_PGM_RSRC2:TGID_Y_EN: 0
; COMPUTE_PGM_RSRC2:TGID_Z_EN: 0
; COMPUTE_PGM_RSRC2:TIDIG_COMP_CNT: 0
	.section	.text._Z21device_test_warp_maskILj4EEvP10TestStatus,"axG",@progbits,_Z21device_test_warp_maskILj4EEvP10TestStatus,comdat
	.protected	_Z21device_test_warp_maskILj4EEvP10TestStatus ; -- Begin function _Z21device_test_warp_maskILj4EEvP10TestStatus
	.globl	_Z21device_test_warp_maskILj4EEvP10TestStatus
	.p2align	8
	.type	_Z21device_test_warp_maskILj4EEvP10TestStatus,@function
_Z21device_test_warp_maskILj4EEvP10TestStatus: ; @_Z21device_test_warp_maskILj4EEvP10TestStatus
; %bb.0:
	v_mbcnt_lo_u32_b32 v6, -1, 0
	s_mov_b32 s5, 0
	s_mov_b32 s2, -1
	s_mov_b32 s4, exec_lo
                                        ; implicit-def: $sgpr3
	s_delay_alu instid0(VALU_DEP_1) | instskip(NEXT) | instid1(VALU_DEP_1)
	v_and_b32_e32 v5, 28, v6
	v_lshlrev_b64 v[1:2], v5, 15
	v_cmpx_ne_u32_e32 0, v5
	s_cbranch_execnz .LBB53_3
; %bb.1:
	s_or_b32 exec_lo, exec_lo, s4
	v_mov_b32_e32 v3, s3
	s_and_saveexec_b32 s4, s2
	s_cbranch_execnz .LBB53_8
.LBB53_2:
	s_or_b32 exec_lo, exec_lo, s4
	s_load_b64 s[0:1], s[0:1], 0x0
	s_waitcnt lgkmcnt(0)
	global_store_b8 v0, v3, s[0:1]
	s_nop 0
	s_sendmsg sendmsg(MSG_DEALLOC_VGPRS)
	s_endpgm
.LBB53_3:
	v_mov_b32_e32 v4, 0
	s_mov_b64 s[2:3], 0
                                        ; implicit-def: $sgpr6
                                        ; implicit-def: $sgpr8
                                        ; implicit-def: $sgpr7
	s_set_inst_prefetch_distance 0x1
	s_branch .LBB53_5
	.p2align	6
.LBB53_4:                               ;   in Loop: Header=BB53_5 Depth=1
	s_or_b32 exec_lo, exec_lo, s9
	s_xor_b32 s9, s7, -1
	s_and_b32 s10, exec_lo, s8
	s_delay_alu instid0(SALU_CYCLE_1) | instskip(SKIP_2) | instid1(SALU_CYCLE_1)
	s_or_b32 s5, s10, s5
	s_and_not1_b32 s6, s6, exec_lo
	s_and_b32 s9, s9, exec_lo
	s_or_b32 s6, s6, s9
	s_and_not1_b32 exec_lo, exec_lo, s5
	s_cbranch_execz .LBB53_7
.LBB53_5:                               ; =>This Inner Loop Header: Depth=1
	v_lshrrev_b64 v[7:8], s2, v[1:2]
	s_or_b32 s7, s7, exec_lo
	s_or_b32 s8, s8, exec_lo
	s_mov_b32 s9, exec_lo
	s_delay_alu instid0(VALU_DEP_1) | instskip(NEXT) | instid1(VALU_DEP_1)
	v_and_b32_e32 v3, 1, v7
	v_cmpx_eq_u64_e32 0, v[3:4]
	s_cbranch_execz .LBB53_4
; %bb.6:                                ;   in Loop: Header=BB53_5 Depth=1
	s_add_u32 s2, s2, 1
	s_addc_u32 s3, s3, 0
	v_cmp_eq_u32_e32 vcc_lo, s2, v5
	s_and_not1_b32 s8, s8, exec_lo
	s_and_not1_b32 s7, s7, exec_lo
	s_and_b32 s10, vcc_lo, exec_lo
	s_delay_alu instid0(SALU_CYCLE_1)
	s_or_b32 s8, s8, s10
	s_branch .LBB53_4
.LBB53_7:
	s_set_inst_prefetch_distance 0x2
	s_or_b32 exec_lo, exec_lo, s5
	s_mov_b32 s3, 0
	s_or_not1_b32 s2, s6, exec_lo
	s_or_b32 exec_lo, exec_lo, s4
	v_mov_b32_e32 v3, s3
	s_and_saveexec_b32 s4, s2
	s_cbranch_execz .LBB53_2
.LBB53_8:
	s_mov_b32 s6, -1
	s_mov_b32 s2, exec_lo
                                        ; implicit-def: $sgpr3
	v_cmpx_gt_u32_e32 -4, v6
	s_cbranch_execz .LBB53_14
; %bb.9:
	v_or_b32_e32 v3, 1, v5
	s_mov_b32 s3, 0
	s_mov_b32 s6, 0
	s_mov_b32 s5, exec_lo
	s_delay_alu instid0(VALU_DEP_1) | instskip(NEXT) | instid1(VALU_DEP_1)
	v_lshrrev_b32_e32 v3, v3, v1
	v_and_b32_e32 v3, 1, v3
	s_delay_alu instid0(VALU_DEP_1)
	v_cmpx_eq_u32_e32 1, v3
	s_cbranch_execz .LBB53_13
; %bb.10:
	v_or_b32_e32 v3, 2, v5
	s_mov_b32 s7, 0
	s_mov_b32 s6, exec_lo
	s_delay_alu instid0(VALU_DEP_1) | instskip(NEXT) | instid1(VALU_DEP_1)
	v_lshrrev_b32_e32 v3, v3, v1
	v_and_b32_e32 v3, 1, v3
	s_delay_alu instid0(VALU_DEP_1)
	v_cmpx_eq_u32_e32 1, v3
; %bb.11:
	v_or_b32_e32 v3, 3, v6
	s_delay_alu instid0(VALU_DEP_1) | instskip(NEXT) | instid1(VALU_DEP_1)
	v_lshrrev_b32_e32 v3, v3, v1
	v_and_b32_e32 v3, 1, v3
	s_delay_alu instid0(VALU_DEP_1)
	v_cmp_eq_u32_e32 vcc_lo, 1, v3
	s_and_b32 s7, vcc_lo, exec_lo
; %bb.12:
	s_or_b32 exec_lo, exec_lo, s6
	s_delay_alu instid0(SALU_CYCLE_1)
	s_and_b32 s6, s7, exec_lo
.LBB53_13:
	s_or_b32 exec_lo, exec_lo, s5
	s_delay_alu instid0(SALU_CYCLE_1)
	s_or_not1_b32 s6, s6, exec_lo
.LBB53_14:
	s_or_b32 exec_lo, exec_lo, s2
	v_mov_b32_e32 v3, s3
	s_and_saveexec_b32 s5, s6
	s_cbranch_execz .LBB53_20
; %bb.15:
	v_add_nc_u32_e32 v3, 4, v5
	s_mov_b32 s2, -1
	s_mov_b32 s6, exec_lo
	s_delay_alu instid0(VALU_DEP_1)
	v_cmpx_gt_u32_e32 64, v3
	s_cbranch_execz .LBB53_19
; %bb.16:
	v_mov_b32_e32 v4, 0
	s_mov_b32 s7, 0
                                        ; implicit-def: $sgpr8
	.p2align	6
.LBB53_17:                              ; =>This Inner Loop Header: Depth=1
	v_lshlrev_b64 v[5:6], v3, 1
	v_cmp_lt_u32_e32 vcc_lo, 62, v3
	v_add_co_u32 v3, s3, v3, 1
	s_delay_alu instid0(VALU_DEP_1) | instskip(NEXT) | instid1(VALU_DEP_4)
	v_add_co_ci_u32_e64 v4, s3, 0, v4, s3
	v_and_b32_e32 v6, v6, v2
	v_and_b32_e32 v5, v5, v1
	s_delay_alu instid0(VALU_DEP_1) | instskip(SKIP_1) | instid1(VALU_DEP_2)
	v_cmp_ne_u64_e64 s2, 0, v[5:6]
	v_cmp_eq_u64_e64 s3, 0, v[5:6]
	s_or_b32 s2, vcc_lo, s2
	s_delay_alu instid0(SALU_CYCLE_1) | instskip(NEXT) | instid1(SALU_CYCLE_1)
	s_and_b32 s2, exec_lo, s2
	s_or_b32 s7, s2, s7
	s_and_not1_b32 s2, s8, exec_lo
	s_delay_alu instid0(VALU_DEP_1) | instskip(NEXT) | instid1(SALU_CYCLE_1)
	s_and_b32 s3, s3, exec_lo
	s_or_b32 s8, s2, s3
	s_and_not1_b32 exec_lo, exec_lo, s7
	s_cbranch_execnz .LBB53_17
; %bb.18:
	s_or_b32 exec_lo, exec_lo, s7
	s_delay_alu instid0(SALU_CYCLE_1)
	s_or_not1_b32 s2, s8, exec_lo
.LBB53_19:
	s_or_b32 exec_lo, exec_lo, s6
	v_cndmask_b32_e64 v3, 0, 1, s2
.LBB53_20:
	s_or_b32 exec_lo, exec_lo, s5
	s_delay_alu instid0(SALU_CYCLE_1)
	s_or_b32 exec_lo, exec_lo, s4
	s_load_b64 s[0:1], s[0:1], 0x0
	s_waitcnt lgkmcnt(0)
	global_store_b8 v0, v3, s[0:1]
	s_nop 0
	s_sendmsg sendmsg(MSG_DEALLOC_VGPRS)
	s_endpgm
	.section	.rodata,"a",@progbits
	.p2align	6, 0x0
	.amdhsa_kernel _Z21device_test_warp_maskILj4EEvP10TestStatus
		.amdhsa_group_segment_fixed_size 0
		.amdhsa_private_segment_fixed_size 0
		.amdhsa_kernarg_size 8
		.amdhsa_user_sgpr_count 15
		.amdhsa_user_sgpr_dispatch_ptr 0
		.amdhsa_user_sgpr_queue_ptr 0
		.amdhsa_user_sgpr_kernarg_segment_ptr 1
		.amdhsa_user_sgpr_dispatch_id 0
		.amdhsa_user_sgpr_private_segment_size 0
		.amdhsa_wavefront_size32 1
		.amdhsa_uses_dynamic_stack 0
		.amdhsa_enable_private_segment 0
		.amdhsa_system_sgpr_workgroup_id_x 1
		.amdhsa_system_sgpr_workgroup_id_y 0
		.amdhsa_system_sgpr_workgroup_id_z 0
		.amdhsa_system_sgpr_workgroup_info 0
		.amdhsa_system_vgpr_workitem_id 0
		.amdhsa_next_free_vgpr 9
		.amdhsa_next_free_sgpr 11
		.amdhsa_reserve_vcc 1
		.amdhsa_float_round_mode_32 0
		.amdhsa_float_round_mode_16_64 0
		.amdhsa_float_denorm_mode_32 3
		.amdhsa_float_denorm_mode_16_64 3
		.amdhsa_dx10_clamp 1
		.amdhsa_ieee_mode 1
		.amdhsa_fp16_overflow 0
		.amdhsa_workgroup_processor_mode 1
		.amdhsa_memory_ordered 1
		.amdhsa_forward_progress 0
		.amdhsa_shared_vgpr_count 0
		.amdhsa_exception_fp_ieee_invalid_op 0
		.amdhsa_exception_fp_denorm_src 0
		.amdhsa_exception_fp_ieee_div_zero 0
		.amdhsa_exception_fp_ieee_overflow 0
		.amdhsa_exception_fp_ieee_underflow 0
		.amdhsa_exception_fp_ieee_inexact 0
		.amdhsa_exception_int_div_zero 0
	.end_amdhsa_kernel
	.section	.text._Z21device_test_warp_maskILj4EEvP10TestStatus,"axG",@progbits,_Z21device_test_warp_maskILj4EEvP10TestStatus,comdat
.Lfunc_end53:
	.size	_Z21device_test_warp_maskILj4EEvP10TestStatus, .Lfunc_end53-_Z21device_test_warp_maskILj4EEvP10TestStatus
                                        ; -- End function
	.section	.AMDGPU.csdata,"",@progbits
; Kernel info:
; codeLenInByte = 612
; NumSgprs: 13
; NumVgprs: 9
; ScratchSize: 0
; MemoryBound: 0
; FloatMode: 240
; IeeeMode: 1
; LDSByteSize: 0 bytes/workgroup (compile time only)
; SGPRBlocks: 1
; VGPRBlocks: 1
; NumSGPRsForWavesPerEU: 13
; NumVGPRsForWavesPerEU: 9
; Occupancy: 16
; WaveLimiterHint : 0
; COMPUTE_PGM_RSRC2:SCRATCH_EN: 0
; COMPUTE_PGM_RSRC2:USER_SGPR: 15
; COMPUTE_PGM_RSRC2:TRAP_HANDLER: 0
; COMPUTE_PGM_RSRC2:TGID_X_EN: 1
; COMPUTE_PGM_RSRC2:TGID_Y_EN: 0
; COMPUTE_PGM_RSRC2:TGID_Z_EN: 0
; COMPUTE_PGM_RSRC2:TIDIG_COMP_CNT: 0
	.section	.text._Z21device_test_warp_maskILj5EEvP10TestStatus,"axG",@progbits,_Z21device_test_warp_maskILj5EEvP10TestStatus,comdat
	.protected	_Z21device_test_warp_maskILj5EEvP10TestStatus ; -- Begin function _Z21device_test_warp_maskILj5EEvP10TestStatus
	.globl	_Z21device_test_warp_maskILj5EEvP10TestStatus
	.p2align	8
	.type	_Z21device_test_warp_maskILj5EEvP10TestStatus,@function
_Z21device_test_warp_maskILj5EEvP10TestStatus: ; @_Z21device_test_warp_maskILj5EEvP10TestStatus
; %bb.0:
	s_mov_b32 s19, 5
	s_mov_b64 s[16:17], 13
	s_mov_b32 s9, 0
	s_branch .LBB54_3
.LBB54_1:                               ;   in Loop: Header=BB54_3 Depth=1
	s_add_i32 s8, s19, 2
	s_mov_b32 s22, -1
                                        ; implicit-def: $sgpr19
                                        ; implicit-def: $sgpr16_sgpr17
                                        ; implicit-def: $sgpr6_sgpr7
                                        ; implicit-def: $sgpr10_sgpr11
                                        ; implicit-def: $sgpr12_sgpr13
                                        ; implicit-def: $sgpr14_sgpr15
.LBB54_2:                               ;   in Loop: Header=BB54_3 Depth=1
	s_and_b32 vcc_lo, exec_lo, s28
	s_cbranch_vccnz .LBB54_14
.LBB54_3:                               ; =>This Inner Loop Header: Depth=1
	s_mov_b64 s[2:3], s[16:17]
	s_mov_b32 s26, 0
	s_add_u32 s18, s2, -7
	s_mov_b32 s27, 0
	s_lshl_b64 s[4:5], 1, s18
	s_mov_b32 s25, 0
	s_and_b32 s8, s4, 30
	s_mov_b32 s24, 0
	s_cmp_lg_u64 s[8:9], 0
	s_mov_b32 s23, 0
	s_mov_b32 s22, 0
	;; [unrolled: 1-line block ×3, first 2 shown]
	s_mov_b32 s21, -1
	s_mov_b32 s28, -1
                                        ; implicit-def: $sgpr16_sgpr17
                                        ; implicit-def: $sgpr8
                                        ; implicit-def: $sgpr4_sgpr5
                                        ; implicit-def: $sgpr6_sgpr7
                                        ; implicit-def: $sgpr10_sgpr11
                                        ; implicit-def: $sgpr12_sgpr13
                                        ; implicit-def: $sgpr14_sgpr15
	s_cbranch_scc1 .LBB54_2
; %bb.4:                                ;   in Loop: Header=BB54_3 Depth=1
	s_add_u32 s4, s2, -6
	s_mov_b32 s20, -1
	s_lshl_b64 s[6:7], 1, s4
	s_mov_b32 s21, 0
	s_and_b32 s8, s6, 30
                                        ; implicit-def: $sgpr16_sgpr17
                                        ; implicit-def: $sgpr6_sgpr7
                                        ; implicit-def: $sgpr10_sgpr11
                                        ; implicit-def: $sgpr12_sgpr13
                                        ; implicit-def: $sgpr14_sgpr15
	s_delay_alu instid0(SALU_CYCLE_1)
	s_cmp_eq_u64 s[8:9], 0
                                        ; implicit-def: $sgpr8
	s_cbranch_scc0 .LBB54_2
; %bb.5:                                ;   in Loop: Header=BB54_3 Depth=1
	s_cmpk_lg_i32 s2, 0x45
	s_mov_b32 s20, 0
	s_cbranch_scc0 .LBB54_1
; %bb.6:                                ;   in Loop: Header=BB54_3 Depth=1
	s_add_u32 s6, s2, -5
	s_mov_b32 s23, -1
	s_lshl_b64 s[10:11], 1, s6
                                        ; implicit-def: $sgpr16_sgpr17
                                        ; implicit-def: $sgpr12_sgpr13
                                        ; implicit-def: $sgpr14_sgpr15
	s_delay_alu instid0(SALU_CYCLE_1) | instskip(NEXT) | instid1(SALU_CYCLE_1)
	s_and_b32 s8, s10, 30
                                        ; implicit-def: $sgpr10_sgpr11
	s_cmp_eq_u64 s[8:9], 0
	s_cbranch_scc0 .LBB54_10
; %bb.7:                                ;   in Loop: Header=BB54_3 Depth=1
	s_add_u32 s10, s2, -4
	s_mov_b32 s24, -1
	s_lshl_b64 s[12:13], 1, s10
	s_mov_b32 s23, 0
	s_and_b32 s8, s12, 30
                                        ; implicit-def: $sgpr16_sgpr17
                                        ; implicit-def: $sgpr12_sgpr13
                                        ; implicit-def: $sgpr14_sgpr15
	s_delay_alu instid0(SALU_CYCLE_1)
	s_cmp_eq_u64 s[8:9], 0
	s_cbranch_scc0 .LBB54_10
; %bb.8:                                ;   in Loop: Header=BB54_3 Depth=1
	s_add_u32 s12, s2, -3
	s_mov_b32 s25, -1
	s_lshl_b64 s[14:15], 1, s12
	s_mov_b32 s24, 0
	s_and_b32 s8, s14, 30
                                        ; implicit-def: $sgpr16_sgpr17
                                        ; implicit-def: $sgpr14_sgpr15
	s_delay_alu instid0(SALU_CYCLE_1)
	s_cmp_eq_u64 s[8:9], 0
	s_cbranch_scc0 .LBB54_10
; %bb.9:                                ;   in Loop: Header=BB54_3 Depth=1
	s_add_u32 s14, s2, -2
	s_mov_b32 s27, -1
	s_lshl_b64 s[16:17], 1, s14
	s_mov_b32 s25, 0
	s_and_b32 s8, s16, 30
                                        ; implicit-def: $sgpr16_sgpr17
	s_delay_alu instid0(SALU_CYCLE_1)
	s_cmp_eq_u64 s[8:9], 0
	s_cbranch_scc1 .LBB54_11
.LBB54_10:                              ;   in Loop: Header=BB54_3 Depth=1
                                        ; implicit-def: $sgpr8
	s_branch .LBB54_2
.LBB54_11:                              ;   in Loop: Header=BB54_3 Depth=1
	s_add_i32 s5, s2, -1
	s_mov_b32 s26, -1
	s_lshl_b64 s[16:17], 1, s5
	s_delay_alu instid0(SALU_CYCLE_1) | instskip(NEXT) | instid1(SALU_CYCLE_1)
	s_and_b32 s8, s16, 30
                                        ; implicit-def: $sgpr16_sgpr17
	s_cmp_eq_u64 s[8:9], 0
	s_cbranch_scc0 .LBB54_13
; %bb.12:                               ;   in Loop: Header=BB54_3 Depth=1
	s_lshl_b64 s[16:17], 1, s2
	s_add_i32 s19, s19, 8
	s_and_b32 s8, s16, 30
	s_mov_b32 s26, 0
	s_cmp_lg_u64 s[8:9], 0
	s_cselect_b32 s28, -1, 0
	s_add_u32 s16, s2, 8
	s_addc_u32 s17, s3, 0
.LBB54_13:                              ;   in Loop: Header=BB54_3 Depth=1
	s_mov_b32 s27, 0
                                        ; implicit-def: $sgpr8
	s_branch .LBB54_2
.LBB54_14:
	s_and_b32 vcc_lo, exec_lo, s21
	s_mov_b32 s3, -1
	s_cbranch_vccnz .LBB54_45
; %bb.15:
	s_xor_b32 s3, s20, -1
	s_delay_alu instid0(SALU_CYCLE_1)
	s_and_not1_b32 vcc_lo, exec_lo, s3
	s_cbranch_vccnz .LBB54_23
; %bb.16:
	s_xor_b32 s3, s22, -1
	s_delay_alu instid0(SALU_CYCLE_1)
	s_and_not1_b32 vcc_lo, exec_lo, s3
	;; [unrolled: 5-line block ×6, first 2 shown]
	s_cbranch_vccnz .LBB54_27
; %bb.21:
	s_xor_b32 s3, s26, -1
	s_delay_alu instid0(SALU_CYCLE_1)
	s_and_b32 vcc_lo, exec_lo, s3
	s_cbranch_vccz .LBB54_28
; %bb.22:
	s_add_i32 s8, s16, -9
	s_mov_b32 s3, 0
	s_branch .LBB54_29
.LBB54_23:
                                        ; implicit-def: $sgpr8
	s_branch .LBB54_43
.LBB54_24:
                                        ; implicit-def: $sgpr8
	s_branch .LBB54_41
.LBB54_25:
	s_mov_b32 s3, -1
                                        ; implicit-def: $sgpr8
	s_branch .LBB54_38
.LBB54_26:
	s_mov_b32 s3, -1
                                        ; implicit-def: $sgpr8
	s_branch .LBB54_35
.LBB54_27:
	s_mov_b32 s3, -1
                                        ; implicit-def: $sgpr8
	s_branch .LBB54_32
.LBB54_28:
	s_mov_b32 s3, -1
                                        ; implicit-def: $sgpr8
.LBB54_29:
	s_delay_alu instid0(SALU_CYCLE_1)
	s_and_not1_b32 vcc_lo, exec_lo, s3
	s_cbranch_vccnz .LBB54_31
; %bb.30:
	s_mov_b32 s8, s14
.LBB54_31:
	s_mov_b32 s3, 0
.LBB54_32:
	s_delay_alu instid0(SALU_CYCLE_1)
	s_and_not1_b32 vcc_lo, exec_lo, s3
	s_cbranch_vccnz .LBB54_34
; %bb.33:
	s_mov_b32 s8, s12
.LBB54_34:
	s_mov_b32 s3, 0
.LBB54_35:
	s_delay_alu instid0(SALU_CYCLE_1)
	s_and_not1_b32 vcc_lo, exec_lo, s3
	s_cbranch_vccnz .LBB54_37
; %bb.36:
	s_mov_b32 s8, s10
.LBB54_37:
	s_mov_b32 s3, 0
.LBB54_38:
	s_delay_alu instid0(SALU_CYCLE_1)
	s_and_not1_b32 vcc_lo, exec_lo, s3
	s_cbranch_vccnz .LBB54_40
; %bb.39:
	s_mov_b32 s8, s6
.LBB54_40:
	s_cbranch_execnz .LBB54_42
.LBB54_41:
	s_mov_b32 s8, s4
.LBB54_42:
	s_cbranch_execnz .LBB54_44
.LBB54_43:
	s_mov_b32 s8, s18
.LBB54_44:
	s_mov_b32 s3, 0
.LBB54_45:
	s_delay_alu instid0(SALU_CYCLE_1)
	s_and_not1_b32 vcc_lo, exec_lo, s3
	s_cbranch_vccnz .LBB54_47
; %bb.46:
	s_add_i32 s8, s2, -8
.LBB54_47:
	s_load_b64 s[0:1], s[0:1], 0x0
	s_cmp_gt_u32 s8, 62
	s_cselect_b32 s2, -1, 0
	s_delay_alu instid0(SALU_CYCLE_1)
	v_cndmask_b32_e64 v1, 0, 1, s2
	s_waitcnt lgkmcnt(0)
	global_store_b8 v0, v1, s[0:1]
	s_nop 0
	s_sendmsg sendmsg(MSG_DEALLOC_VGPRS)
	s_endpgm
	.section	.rodata,"a",@progbits
	.p2align	6, 0x0
	.amdhsa_kernel _Z21device_test_warp_maskILj5EEvP10TestStatus
		.amdhsa_group_segment_fixed_size 0
		.amdhsa_private_segment_fixed_size 0
		.amdhsa_kernarg_size 8
		.amdhsa_user_sgpr_count 15
		.amdhsa_user_sgpr_dispatch_ptr 0
		.amdhsa_user_sgpr_queue_ptr 0
		.amdhsa_user_sgpr_kernarg_segment_ptr 1
		.amdhsa_user_sgpr_dispatch_id 0
		.amdhsa_user_sgpr_private_segment_size 0
		.amdhsa_wavefront_size32 1
		.amdhsa_uses_dynamic_stack 0
		.amdhsa_enable_private_segment 0
		.amdhsa_system_sgpr_workgroup_id_x 1
		.amdhsa_system_sgpr_workgroup_id_y 0
		.amdhsa_system_sgpr_workgroup_id_z 0
		.amdhsa_system_sgpr_workgroup_info 0
		.amdhsa_system_vgpr_workitem_id 0
		.amdhsa_next_free_vgpr 2
		.amdhsa_next_free_sgpr 29
		.amdhsa_reserve_vcc 1
		.amdhsa_float_round_mode_32 0
		.amdhsa_float_round_mode_16_64 0
		.amdhsa_float_denorm_mode_32 3
		.amdhsa_float_denorm_mode_16_64 3
		.amdhsa_dx10_clamp 1
		.amdhsa_ieee_mode 1
		.amdhsa_fp16_overflow 0
		.amdhsa_workgroup_processor_mode 1
		.amdhsa_memory_ordered 1
		.amdhsa_forward_progress 0
		.amdhsa_shared_vgpr_count 0
		.amdhsa_exception_fp_ieee_invalid_op 0
		.amdhsa_exception_fp_denorm_src 0
		.amdhsa_exception_fp_ieee_div_zero 0
		.amdhsa_exception_fp_ieee_overflow 0
		.amdhsa_exception_fp_ieee_underflow 0
		.amdhsa_exception_fp_ieee_inexact 0
		.amdhsa_exception_int_div_zero 0
	.end_amdhsa_kernel
	.section	.text._Z21device_test_warp_maskILj5EEvP10TestStatus,"axG",@progbits,_Z21device_test_warp_maskILj5EEvP10TestStatus,comdat
.Lfunc_end54:
	.size	_Z21device_test_warp_maskILj5EEvP10TestStatus, .Lfunc_end54-_Z21device_test_warp_maskILj5EEvP10TestStatus
                                        ; -- End function
	.section	.AMDGPU.csdata,"",@progbits
; Kernel info:
; codeLenInByte = 668
; NumSgprs: 31
; NumVgprs: 2
; ScratchSize: 0
; MemoryBound: 0
; FloatMode: 240
; IeeeMode: 1
; LDSByteSize: 0 bytes/workgroup (compile time only)
; SGPRBlocks: 3
; VGPRBlocks: 0
; NumSGPRsForWavesPerEU: 31
; NumVGPRsForWavesPerEU: 2
; Occupancy: 16
; WaveLimiterHint : 0
; COMPUTE_PGM_RSRC2:SCRATCH_EN: 0
; COMPUTE_PGM_RSRC2:USER_SGPR: 15
; COMPUTE_PGM_RSRC2:TRAP_HANDLER: 0
; COMPUTE_PGM_RSRC2:TGID_X_EN: 1
; COMPUTE_PGM_RSRC2:TGID_Y_EN: 0
; COMPUTE_PGM_RSRC2:TGID_Z_EN: 0
; COMPUTE_PGM_RSRC2:TIDIG_COMP_CNT: 0
	.section	.text._Z21device_test_warp_maskILj6EEvP10TestStatus,"axG",@progbits,_Z21device_test_warp_maskILj6EEvP10TestStatus,comdat
	.protected	_Z21device_test_warp_maskILj6EEvP10TestStatus ; -- Begin function _Z21device_test_warp_maskILj6EEvP10TestStatus
	.globl	_Z21device_test_warp_maskILj6EEvP10TestStatus
	.p2align	8
	.type	_Z21device_test_warp_maskILj6EEvP10TestStatus,@function
_Z21device_test_warp_maskILj6EEvP10TestStatus: ; @_Z21device_test_warp_maskILj6EEvP10TestStatus
; %bb.0:
	s_mov_b32 s8, 6
	s_mov_b64 s[6:7], 7
	s_mov_b32 s5, 0
	s_branch .LBB55_3
	.p2align	6
.LBB55_1:                               ;   in Loop: Header=BB55_3 Depth=1
	s_mov_b32 s10, 0
.LBB55_2:                               ;   in Loop: Header=BB55_3 Depth=1
	s_and_b32 vcc_lo, exec_lo, s4
	s_cbranch_vccnz .LBB55_6
.LBB55_3:                               ; =>This Inner Loop Header: Depth=1
	s_mov_b64 s[2:3], s[6:7]
	s_mov_b32 s10, -1
	s_lshl_b64 s[6:7], 1, s2
                                        ; implicit-def: $sgpr9
	s_delay_alu instid0(SALU_CYCLE_1) | instskip(NEXT) | instid1(SALU_CYCLE_1)
	s_and_b32 s4, s6, 42
                                        ; implicit-def: $sgpr6_sgpr7
	s_cmp_lg_u64 s[4:5], 0
	s_mov_b32 s4, -1
	s_cbranch_scc1 .LBB55_2
; %bb.4:                                ;   in Loop: Header=BB55_3 Depth=1
	s_cmp_lg_u32 s2, 63
	s_mov_b32 s9, 63
                                        ; implicit-def: $sgpr6_sgpr7
	s_cbranch_scc0 .LBB55_1
; %bb.5:                                ;   in Loop: Header=BB55_3 Depth=1
	s_add_i32 s4, s2, 1
	s_or_b32 s9, s8, 1
	s_lshl_b64 s[6:7], 1, s4
	s_delay_alu instid0(SALU_CYCLE_1) | instskip(NEXT) | instid1(SALU_CYCLE_1)
	s_and_b32 s4, s6, 20
	s_cmp_lg_u64 s[4:5], 0
	s_cselect_b32 s4, -1, 0
	s_add_u32 s6, s2, 2
	s_addc_u32 s7, s3, 0
	s_add_i32 s8, s8, 2
	s_branch .LBB55_1
.LBB55_6:
	s_and_b32 vcc_lo, exec_lo, s10
	s_cbranch_vccz .LBB55_8
; %bb.7:
	s_add_i32 s9, s2, -1
.LBB55_8:
	s_load_b64 s[0:1], s[0:1], 0x0
	s_cmp_gt_u32 s9, 62
	s_cselect_b32 s2, -1, 0
	s_delay_alu instid0(SALU_CYCLE_1)
	v_cndmask_b32_e64 v1, 0, 1, s2
	s_waitcnt lgkmcnt(0)
	global_store_b8 v0, v1, s[0:1]
	s_nop 0
	s_sendmsg sendmsg(MSG_DEALLOC_VGPRS)
	s_endpgm
	.section	.rodata,"a",@progbits
	.p2align	6, 0x0
	.amdhsa_kernel _Z21device_test_warp_maskILj6EEvP10TestStatus
		.amdhsa_group_segment_fixed_size 0
		.amdhsa_private_segment_fixed_size 0
		.amdhsa_kernarg_size 8
		.amdhsa_user_sgpr_count 15
		.amdhsa_user_sgpr_dispatch_ptr 0
		.amdhsa_user_sgpr_queue_ptr 0
		.amdhsa_user_sgpr_kernarg_segment_ptr 1
		.amdhsa_user_sgpr_dispatch_id 0
		.amdhsa_user_sgpr_private_segment_size 0
		.amdhsa_wavefront_size32 1
		.amdhsa_uses_dynamic_stack 0
		.amdhsa_enable_private_segment 0
		.amdhsa_system_sgpr_workgroup_id_x 1
		.amdhsa_system_sgpr_workgroup_id_y 0
		.amdhsa_system_sgpr_workgroup_id_z 0
		.amdhsa_system_sgpr_workgroup_info 0
		.amdhsa_system_vgpr_workitem_id 0
		.amdhsa_next_free_vgpr 2
		.amdhsa_next_free_sgpr 11
		.amdhsa_reserve_vcc 1
		.amdhsa_float_round_mode_32 0
		.amdhsa_float_round_mode_16_64 0
		.amdhsa_float_denorm_mode_32 3
		.amdhsa_float_denorm_mode_16_64 3
		.amdhsa_dx10_clamp 1
		.amdhsa_ieee_mode 1
		.amdhsa_fp16_overflow 0
		.amdhsa_workgroup_processor_mode 1
		.amdhsa_memory_ordered 1
		.amdhsa_forward_progress 0
		.amdhsa_shared_vgpr_count 0
		.amdhsa_exception_fp_ieee_invalid_op 0
		.amdhsa_exception_fp_denorm_src 0
		.amdhsa_exception_fp_ieee_div_zero 0
		.amdhsa_exception_fp_ieee_overflow 0
		.amdhsa_exception_fp_ieee_underflow 0
		.amdhsa_exception_fp_ieee_inexact 0
		.amdhsa_exception_int_div_zero 0
	.end_amdhsa_kernel
	.section	.text._Z21device_test_warp_maskILj6EEvP10TestStatus,"axG",@progbits,_Z21device_test_warp_maskILj6EEvP10TestStatus,comdat
.Lfunc_end55:
	.size	_Z21device_test_warp_maskILj6EEvP10TestStatus, .Lfunc_end55-_Z21device_test_warp_maskILj6EEvP10TestStatus
                                        ; -- End function
	.section	.AMDGPU.csdata,"",@progbits
; Kernel info:
; codeLenInByte = 180
; NumSgprs: 13
; NumVgprs: 2
; ScratchSize: 0
; MemoryBound: 0
; FloatMode: 240
; IeeeMode: 1
; LDSByteSize: 0 bytes/workgroup (compile time only)
; SGPRBlocks: 1
; VGPRBlocks: 0
; NumSGPRsForWavesPerEU: 13
; NumVGPRsForWavesPerEU: 2
; Occupancy: 16
; WaveLimiterHint : 0
; COMPUTE_PGM_RSRC2:SCRATCH_EN: 0
; COMPUTE_PGM_RSRC2:USER_SGPR: 15
; COMPUTE_PGM_RSRC2:TRAP_HANDLER: 0
; COMPUTE_PGM_RSRC2:TGID_X_EN: 1
; COMPUTE_PGM_RSRC2:TGID_Y_EN: 0
; COMPUTE_PGM_RSRC2:TGID_Z_EN: 0
; COMPUTE_PGM_RSRC2:TIDIG_COMP_CNT: 0
	.section	.text._Z21device_test_warp_maskILj7EEvP10TestStatus,"axG",@progbits,_Z21device_test_warp_maskILj7EEvP10TestStatus,comdat
	.protected	_Z21device_test_warp_maskILj7EEvP10TestStatus ; -- Begin function _Z21device_test_warp_maskILj7EEvP10TestStatus
	.globl	_Z21device_test_warp_maskILj7EEvP10TestStatus
	.p2align	8
	.type	_Z21device_test_warp_maskILj7EEvP10TestStatus,@function
_Z21device_test_warp_maskILj7EEvP10TestStatus: ; @_Z21device_test_warp_maskILj7EEvP10TestStatus
; %bb.0:
	s_mov_b32 s12, 7
	s_mov_b64 s[8:9], 10
	s_mov_b32 s5, 0
	s_set_inst_prefetch_distance 0x1
	s_branch .LBB56_3
.LBB56_1:                               ;   in Loop: Header=BB56_3 Depth=1
	s_mov_b32 s15, 0
	.p2align	6
.LBB56_2:                               ;   in Loop: Header=BB56_3 Depth=1
	s_and_b32 vcc_lo, exec_lo, s4
	s_cbranch_vccnz .LBB56_7
.LBB56_3:                               ; =>This Inner Loop Header: Depth=1
	s_mov_b64 s[2:3], s[8:9]
	s_mov_b32 s13, -1
	s_add_u32 s10, s2, -2
	s_mov_b32 s14, 0
	s_lshl_b64 s[6:7], 1, s10
	s_mov_b32 s15, 0
	s_and_b32 s4, s6, 0x7e
                                        ; implicit-def: $sgpr8_sgpr9
                                        ; implicit-def: $sgpr11
                                        ; implicit-def: $sgpr6_sgpr7
	s_delay_alu instid0(SALU_CYCLE_1)
	s_cmp_lg_u64 s[4:5], 0
	s_mov_b32 s4, -1
	s_cbranch_scc1 .LBB56_2
; %bb.4:                                ;   in Loop: Header=BB56_3 Depth=1
	s_add_u32 s6, s2, -1
	s_mov_b32 s15, -1
	s_lshl_b64 s[8:9], 1, s6
	s_mov_b32 s13, 0
	s_and_b32 s4, s8, 0x7e
                                        ; implicit-def: $sgpr8_sgpr9
                                        ; implicit-def: $sgpr11
	s_delay_alu instid0(SALU_CYCLE_1)
	s_cmp_eq_u64 s[4:5], 0
	s_mov_b32 s4, -1
	s_cbranch_scc0 .LBB56_2
; %bb.5:                                ;   in Loop: Header=BB56_3 Depth=1
	s_mov_b32 s14, -1
	s_cmp_lg_u32 s2, 64
                                        ; implicit-def: $sgpr8_sgpr9
                                        ; implicit-def: $sgpr11
	s_cbranch_scc0 .LBB56_1
; %bb.6:                                ;   in Loop: Header=BB56_3 Depth=1
	s_lshl_b64 s[8:9], 1, s2
	s_add_i32 s11, s12, 2
	s_and_b32 s4, s8, 0x7e
	s_mov_b32 s14, 0
	s_cmp_lg_u64 s[4:5], 0
	s_cselect_b32 s4, -1, 0
	s_add_u32 s8, s2, 3
	s_addc_u32 s9, s3, 0
	s_add_i32 s12, s12, 3
	s_branch .LBB56_1
.LBB56_7:
	s_set_inst_prefetch_distance 0x2
	s_and_b32 vcc_lo, exec_lo, s13
	s_mov_b32 s3, -1
	s_cbranch_vccnz .LBB56_15
; %bb.8:
	s_xor_b32 s3, s15, -1
	s_delay_alu instid0(SALU_CYCLE_1)
	s_and_not1_b32 vcc_lo, exec_lo, s3
	s_cbranch_vccnz .LBB56_12
; %bb.9:
	s_and_b32 vcc_lo, exec_lo, s14
	s_cbranch_vccz .LBB56_11
; %bb.10:
	s_mov_b32 s11, s6
.LBB56_11:
	s_cbranch_execz .LBB56_13
	s_branch .LBB56_14
.LBB56_12:
                                        ; implicit-def: $sgpr11
.LBB56_13:
	s_mov_b32 s11, s10
.LBB56_14:
	s_mov_b32 s3, 0
.LBB56_15:
	s_delay_alu instid0(SALU_CYCLE_1)
	s_and_not1_b32 vcc_lo, exec_lo, s3
	s_cbranch_vccnz .LBB56_17
; %bb.16:
	s_add_i32 s11, s2, -3
.LBB56_17:
	s_load_b64 s[0:1], s[0:1], 0x0
	s_cmp_gt_u32 s11, 62
	s_cselect_b32 s2, -1, 0
	s_delay_alu instid0(SALU_CYCLE_1)
	v_cndmask_b32_e64 v1, 0, 1, s2
	s_waitcnt lgkmcnt(0)
	global_store_b8 v0, v1, s[0:1]
	s_nop 0
	s_sendmsg sendmsg(MSG_DEALLOC_VGPRS)
	s_endpgm
	.section	.rodata,"a",@progbits
	.p2align	6, 0x0
	.amdhsa_kernel _Z21device_test_warp_maskILj7EEvP10TestStatus
		.amdhsa_group_segment_fixed_size 0
		.amdhsa_private_segment_fixed_size 0
		.amdhsa_kernarg_size 8
		.amdhsa_user_sgpr_count 15
		.amdhsa_user_sgpr_dispatch_ptr 0
		.amdhsa_user_sgpr_queue_ptr 0
		.amdhsa_user_sgpr_kernarg_segment_ptr 1
		.amdhsa_user_sgpr_dispatch_id 0
		.amdhsa_user_sgpr_private_segment_size 0
		.amdhsa_wavefront_size32 1
		.amdhsa_uses_dynamic_stack 0
		.amdhsa_enable_private_segment 0
		.amdhsa_system_sgpr_workgroup_id_x 1
		.amdhsa_system_sgpr_workgroup_id_y 0
		.amdhsa_system_sgpr_workgroup_id_z 0
		.amdhsa_system_sgpr_workgroup_info 0
		.amdhsa_system_vgpr_workitem_id 0
		.amdhsa_next_free_vgpr 2
		.amdhsa_next_free_sgpr 16
		.amdhsa_reserve_vcc 1
		.amdhsa_float_round_mode_32 0
		.amdhsa_float_round_mode_16_64 0
		.amdhsa_float_denorm_mode_32 3
		.amdhsa_float_denorm_mode_16_64 3
		.amdhsa_dx10_clamp 1
		.amdhsa_ieee_mode 1
		.amdhsa_fp16_overflow 0
		.amdhsa_workgroup_processor_mode 1
		.amdhsa_memory_ordered 1
		.amdhsa_forward_progress 0
		.amdhsa_shared_vgpr_count 0
		.amdhsa_exception_fp_ieee_invalid_op 0
		.amdhsa_exception_fp_denorm_src 0
		.amdhsa_exception_fp_ieee_div_zero 0
		.amdhsa_exception_fp_ieee_overflow 0
		.amdhsa_exception_fp_ieee_underflow 0
		.amdhsa_exception_fp_ieee_inexact 0
		.amdhsa_exception_int_div_zero 0
	.end_amdhsa_kernel
	.section	.text._Z21device_test_warp_maskILj7EEvP10TestStatus,"axG",@progbits,_Z21device_test_warp_maskILj7EEvP10TestStatus,comdat
.Lfunc_end56:
	.size	_Z21device_test_warp_maskILj7EEvP10TestStatus, .Lfunc_end56-_Z21device_test_warp_maskILj7EEvP10TestStatus
                                        ; -- End function
	.section	.AMDGPU.csdata,"",@progbits
; Kernel info:
; codeLenInByte = 304
; NumSgprs: 18
; NumVgprs: 2
; ScratchSize: 0
; MemoryBound: 0
; FloatMode: 240
; IeeeMode: 1
; LDSByteSize: 0 bytes/workgroup (compile time only)
; SGPRBlocks: 2
; VGPRBlocks: 0
; NumSGPRsForWavesPerEU: 18
; NumVGPRsForWavesPerEU: 2
; Occupancy: 16
; WaveLimiterHint : 0
; COMPUTE_PGM_RSRC2:SCRATCH_EN: 0
; COMPUTE_PGM_RSRC2:USER_SGPR: 15
; COMPUTE_PGM_RSRC2:TRAP_HANDLER: 0
; COMPUTE_PGM_RSRC2:TGID_X_EN: 1
; COMPUTE_PGM_RSRC2:TGID_Y_EN: 0
; COMPUTE_PGM_RSRC2:TGID_Z_EN: 0
; COMPUTE_PGM_RSRC2:TIDIG_COMP_CNT: 0
	.section	.text._Z21device_test_warp_maskILj8EEvP10TestStatus,"axG",@progbits,_Z21device_test_warp_maskILj8EEvP10TestStatus,comdat
	.protected	_Z21device_test_warp_maskILj8EEvP10TestStatus ; -- Begin function _Z21device_test_warp_maskILj8EEvP10TestStatus
	.globl	_Z21device_test_warp_maskILj8EEvP10TestStatus
	.p2align	8
	.type	_Z21device_test_warp_maskILj8EEvP10TestStatus,@function
_Z21device_test_warp_maskILj8EEvP10TestStatus: ; @_Z21device_test_warp_maskILj8EEvP10TestStatus
; %bb.0:
	v_mbcnt_lo_u32_b32 v6, -1, 0
	s_mov_b32 s5, 0
	s_mov_b32 s2, -1
	s_mov_b32 s4, exec_lo
                                        ; implicit-def: $sgpr3
	s_delay_alu instid0(VALU_DEP_1) | instskip(NEXT) | instid1(VALU_DEP_1)
	v_and_b32_e32 v5, 24, v6
	v_lshlrev_b64 v[1:2], v5, 0xff
	v_cmpx_ne_u32_e32 0, v5
	s_cbranch_execnz .LBB57_3
; %bb.1:
	s_or_b32 exec_lo, exec_lo, s4
	v_mov_b32_e32 v3, s3
	s_and_saveexec_b32 s4, s2
	s_cbranch_execnz .LBB57_8
.LBB57_2:
	s_or_b32 exec_lo, exec_lo, s4
	s_load_b64 s[0:1], s[0:1], 0x0
	s_waitcnt lgkmcnt(0)
	global_store_b8 v0, v3, s[0:1]
	s_nop 0
	s_sendmsg sendmsg(MSG_DEALLOC_VGPRS)
	s_endpgm
.LBB57_3:
	v_mov_b32_e32 v4, 0
	s_mov_b64 s[2:3], 0
                                        ; implicit-def: $sgpr6
                                        ; implicit-def: $sgpr8
                                        ; implicit-def: $sgpr7
	s_set_inst_prefetch_distance 0x1
	s_branch .LBB57_5
	.p2align	6
.LBB57_4:                               ;   in Loop: Header=BB57_5 Depth=1
	s_or_b32 exec_lo, exec_lo, s9
	s_xor_b32 s9, s7, -1
	s_and_b32 s10, exec_lo, s8
	s_delay_alu instid0(SALU_CYCLE_1) | instskip(SKIP_2) | instid1(SALU_CYCLE_1)
	s_or_b32 s5, s10, s5
	s_and_not1_b32 s6, s6, exec_lo
	s_and_b32 s9, s9, exec_lo
	s_or_b32 s6, s6, s9
	s_and_not1_b32 exec_lo, exec_lo, s5
	s_cbranch_execz .LBB57_7
.LBB57_5:                               ; =>This Inner Loop Header: Depth=1
	v_lshrrev_b64 v[7:8], s2, v[1:2]
	s_or_b32 s7, s7, exec_lo
	s_or_b32 s8, s8, exec_lo
	s_mov_b32 s9, exec_lo
	s_delay_alu instid0(VALU_DEP_1) | instskip(NEXT) | instid1(VALU_DEP_1)
	v_and_b32_e32 v3, 1, v7
	v_cmpx_eq_u64_e32 0, v[3:4]
	s_cbranch_execz .LBB57_4
; %bb.6:                                ;   in Loop: Header=BB57_5 Depth=1
	s_add_u32 s2, s2, 1
	s_addc_u32 s3, s3, 0
	v_cmp_eq_u32_e32 vcc_lo, s2, v5
	s_and_not1_b32 s8, s8, exec_lo
	s_and_not1_b32 s7, s7, exec_lo
	s_and_b32 s10, vcc_lo, exec_lo
	s_delay_alu instid0(SALU_CYCLE_1)
	s_or_b32 s8, s8, s10
	s_branch .LBB57_4
.LBB57_7:
	s_set_inst_prefetch_distance 0x2
	s_or_b32 exec_lo, exec_lo, s5
	s_mov_b32 s3, 0
	s_or_not1_b32 s2, s6, exec_lo
	s_or_b32 exec_lo, exec_lo, s4
	v_mov_b32_e32 v3, s3
	s_and_saveexec_b32 s4, s2
	s_cbranch_execz .LBB57_2
.LBB57_8:
	s_mov_b32 s6, -1
	s_mov_b32 s2, exec_lo
                                        ; implicit-def: $sgpr3
	v_cmpx_gt_u32_e32 -8, v6
	s_cbranch_execz .LBB57_22
; %bb.9:
	v_or_b32_e32 v3, 1, v5
	s_mov_b32 s3, 0
	s_mov_b32 s6, 0
	s_mov_b32 s5, exec_lo
	s_delay_alu instid0(VALU_DEP_1) | instskip(NEXT) | instid1(VALU_DEP_1)
	v_lshrrev_b32_e32 v3, v3, v1
	v_and_b32_e32 v3, 1, v3
	s_delay_alu instid0(VALU_DEP_1)
	v_cmpx_eq_u32_e32 1, v3
	s_cbranch_execz .LBB57_21
; %bb.10:
	v_or_b32_e32 v3, 2, v5
	s_mov_b32 s7, 0
	s_mov_b32 s6, exec_lo
	s_delay_alu instid0(VALU_DEP_1) | instskip(NEXT) | instid1(VALU_DEP_1)
	v_lshrrev_b32_e32 v3, v3, v1
	v_and_b32_e32 v3, 1, v3
	s_delay_alu instid0(VALU_DEP_1)
	v_cmpx_eq_u32_e32 1, v3
	s_cbranch_execz .LBB57_20
; %bb.11:
	v_or_b32_e32 v3, 3, v5
	s_mov_b32 s8, 0
	s_mov_b32 s7, exec_lo
	s_delay_alu instid0(VALU_DEP_1) | instskip(NEXT) | instid1(VALU_DEP_1)
	v_lshrrev_b32_e32 v3, v3, v1
	v_and_b32_e32 v3, 1, v3
	s_delay_alu instid0(VALU_DEP_1)
	v_cmpx_eq_u32_e32 1, v3
	s_cbranch_execz .LBB57_19
; %bb.12:
	v_or_b32_e32 v3, 4, v5
	s_mov_b32 s9, 0
	s_mov_b32 s8, exec_lo
	s_delay_alu instid0(VALU_DEP_1) | instskip(NEXT) | instid1(VALU_DEP_1)
	v_lshrrev_b32_e32 v3, v3, v1
	v_and_b32_e32 v3, 1, v3
	s_delay_alu instid0(VALU_DEP_1)
	v_cmpx_eq_u32_e32 1, v3
	s_cbranch_execz .LBB57_18
; %bb.13:
	v_or_b32_e32 v3, 5, v5
	s_mov_b32 s10, 0
	s_mov_b32 s9, exec_lo
	s_delay_alu instid0(VALU_DEP_1) | instskip(NEXT) | instid1(VALU_DEP_1)
	v_lshrrev_b32_e32 v3, v3, v1
	v_and_b32_e32 v3, 1, v3
	s_delay_alu instid0(VALU_DEP_1)
	v_cmpx_eq_u32_e32 1, v3
	s_cbranch_execz .LBB57_17
; %bb.14:
	v_or_b32_e32 v3, 6, v5
	s_mov_b32 s11, 0
	s_mov_b32 s10, exec_lo
	s_delay_alu instid0(VALU_DEP_1) | instskip(NEXT) | instid1(VALU_DEP_1)
	v_lshrrev_b32_e32 v3, v3, v1
	v_and_b32_e32 v3, 1, v3
	s_delay_alu instid0(VALU_DEP_1)
	v_cmpx_eq_u32_e32 1, v3
; %bb.15:
	v_or_b32_e32 v3, 7, v6
	s_delay_alu instid0(VALU_DEP_1) | instskip(NEXT) | instid1(VALU_DEP_1)
	v_lshrrev_b32_e32 v3, v3, v1
	v_and_b32_e32 v3, 1, v3
	s_delay_alu instid0(VALU_DEP_1)
	v_cmp_eq_u32_e32 vcc_lo, 1, v3
	s_and_b32 s11, vcc_lo, exec_lo
; %bb.16:
	s_or_b32 exec_lo, exec_lo, s10
	s_delay_alu instid0(SALU_CYCLE_1)
	s_and_b32 s10, s11, exec_lo
.LBB57_17:
	s_or_b32 exec_lo, exec_lo, s9
	s_delay_alu instid0(SALU_CYCLE_1)
	s_and_b32 s9, s10, exec_lo
.LBB57_18:
	s_or_b32 exec_lo, exec_lo, s8
	s_delay_alu instid0(SALU_CYCLE_1)
	s_and_b32 s8, s9, exec_lo
.LBB57_19:
	s_or_b32 exec_lo, exec_lo, s7
	s_delay_alu instid0(SALU_CYCLE_1)
	s_and_b32 s7, s8, exec_lo
.LBB57_20:
	s_or_b32 exec_lo, exec_lo, s6
	s_delay_alu instid0(SALU_CYCLE_1)
	s_and_b32 s6, s7, exec_lo
.LBB57_21:
	s_or_b32 exec_lo, exec_lo, s5
	s_delay_alu instid0(SALU_CYCLE_1)
	s_or_not1_b32 s6, s6, exec_lo
.LBB57_22:
	s_or_b32 exec_lo, exec_lo, s2
	v_mov_b32_e32 v3, s3
	s_and_saveexec_b32 s5, s6
	s_cbranch_execz .LBB57_28
; %bb.23:
	v_add_nc_u32_e32 v3, 8, v5
	s_mov_b32 s2, -1
	s_mov_b32 s6, exec_lo
	s_delay_alu instid0(VALU_DEP_1)
	v_cmpx_gt_u32_e32 64, v3
	s_cbranch_execz .LBB57_27
; %bb.24:
	v_mov_b32_e32 v4, 0
	s_mov_b32 s7, 0
                                        ; implicit-def: $sgpr8
	.p2align	6
.LBB57_25:                              ; =>This Inner Loop Header: Depth=1
	v_lshlrev_b64 v[5:6], v3, 1
	v_cmp_lt_u32_e32 vcc_lo, 62, v3
	v_add_co_u32 v3, s3, v3, 1
	s_delay_alu instid0(VALU_DEP_1) | instskip(NEXT) | instid1(VALU_DEP_4)
	v_add_co_ci_u32_e64 v4, s3, 0, v4, s3
	v_and_b32_e32 v6, v6, v2
	v_and_b32_e32 v5, v5, v1
	s_delay_alu instid0(VALU_DEP_1) | instskip(SKIP_1) | instid1(VALU_DEP_2)
	v_cmp_ne_u64_e64 s2, 0, v[5:6]
	v_cmp_eq_u64_e64 s3, 0, v[5:6]
	s_or_b32 s2, vcc_lo, s2
	s_delay_alu instid0(SALU_CYCLE_1) | instskip(NEXT) | instid1(SALU_CYCLE_1)
	s_and_b32 s2, exec_lo, s2
	s_or_b32 s7, s2, s7
	s_and_not1_b32 s2, s8, exec_lo
	s_delay_alu instid0(VALU_DEP_1) | instskip(NEXT) | instid1(SALU_CYCLE_1)
	s_and_b32 s3, s3, exec_lo
	s_or_b32 s8, s2, s3
	s_and_not1_b32 exec_lo, exec_lo, s7
	s_cbranch_execnz .LBB57_25
; %bb.26:
	s_or_b32 exec_lo, exec_lo, s7
	s_delay_alu instid0(SALU_CYCLE_1)
	s_or_not1_b32 s2, s8, exec_lo
.LBB57_27:
	s_or_b32 exec_lo, exec_lo, s6
	v_cndmask_b32_e64 v3, 0, 1, s2
.LBB57_28:
	s_or_b32 exec_lo, exec_lo, s5
	s_delay_alu instid0(SALU_CYCLE_1)
	s_or_b32 exec_lo, exec_lo, s4
	s_load_b64 s[0:1], s[0:1], 0x0
	s_waitcnt lgkmcnt(0)
	global_store_b8 v0, v3, s[0:1]
	s_nop 0
	s_sendmsg sendmsg(MSG_DEALLOC_VGPRS)
	s_endpgm
	.section	.rodata,"a",@progbits
	.p2align	6, 0x0
	.amdhsa_kernel _Z21device_test_warp_maskILj8EEvP10TestStatus
		.amdhsa_group_segment_fixed_size 0
		.amdhsa_private_segment_fixed_size 0
		.amdhsa_kernarg_size 8
		.amdhsa_user_sgpr_count 15
		.amdhsa_user_sgpr_dispatch_ptr 0
		.amdhsa_user_sgpr_queue_ptr 0
		.amdhsa_user_sgpr_kernarg_segment_ptr 1
		.amdhsa_user_sgpr_dispatch_id 0
		.amdhsa_user_sgpr_private_segment_size 0
		.amdhsa_wavefront_size32 1
		.amdhsa_uses_dynamic_stack 0
		.amdhsa_enable_private_segment 0
		.amdhsa_system_sgpr_workgroup_id_x 1
		.amdhsa_system_sgpr_workgroup_id_y 0
		.amdhsa_system_sgpr_workgroup_id_z 0
		.amdhsa_system_sgpr_workgroup_info 0
		.amdhsa_system_vgpr_workitem_id 0
		.amdhsa_next_free_vgpr 9
		.amdhsa_next_free_sgpr 12
		.amdhsa_reserve_vcc 1
		.amdhsa_float_round_mode_32 0
		.amdhsa_float_round_mode_16_64 0
		.amdhsa_float_denorm_mode_32 3
		.amdhsa_float_denorm_mode_16_64 3
		.amdhsa_dx10_clamp 1
		.amdhsa_ieee_mode 1
		.amdhsa_fp16_overflow 0
		.amdhsa_workgroup_processor_mode 1
		.amdhsa_memory_ordered 1
		.amdhsa_forward_progress 0
		.amdhsa_shared_vgpr_count 0
		.amdhsa_exception_fp_ieee_invalid_op 0
		.amdhsa_exception_fp_denorm_src 0
		.amdhsa_exception_fp_ieee_div_zero 0
		.amdhsa_exception_fp_ieee_overflow 0
		.amdhsa_exception_fp_ieee_underflow 0
		.amdhsa_exception_fp_ieee_inexact 0
		.amdhsa_exception_int_div_zero 0
	.end_amdhsa_kernel
	.section	.text._Z21device_test_warp_maskILj8EEvP10TestStatus,"axG",@progbits,_Z21device_test_warp_maskILj8EEvP10TestStatus,comdat
.Lfunc_end57:
	.size	_Z21device_test_warp_maskILj8EEvP10TestStatus, .Lfunc_end57-_Z21device_test_warp_maskILj8EEvP10TestStatus
                                        ; -- End function
	.section	.AMDGPU.csdata,"",@progbits
; Kernel info:
; codeLenInByte = 808
; NumSgprs: 14
; NumVgprs: 9
; ScratchSize: 0
; MemoryBound: 0
; FloatMode: 240
; IeeeMode: 1
; LDSByteSize: 0 bytes/workgroup (compile time only)
; SGPRBlocks: 1
; VGPRBlocks: 1
; NumSGPRsForWavesPerEU: 14
; NumVGPRsForWavesPerEU: 9
; Occupancy: 16
; WaveLimiterHint : 0
; COMPUTE_PGM_RSRC2:SCRATCH_EN: 0
; COMPUTE_PGM_RSRC2:USER_SGPR: 15
; COMPUTE_PGM_RSRC2:TRAP_HANDLER: 0
; COMPUTE_PGM_RSRC2:TGID_X_EN: 1
; COMPUTE_PGM_RSRC2:TGID_Y_EN: 0
; COMPUTE_PGM_RSRC2:TGID_Z_EN: 0
; COMPUTE_PGM_RSRC2:TIDIG_COMP_CNT: 0
	.section	.text._Z21device_test_warp_maskILj9EEvP10TestStatus,"axG",@progbits,_Z21device_test_warp_maskILj9EEvP10TestStatus,comdat
	.protected	_Z21device_test_warp_maskILj9EEvP10TestStatus ; -- Begin function _Z21device_test_warp_maskILj9EEvP10TestStatus
	.globl	_Z21device_test_warp_maskILj9EEvP10TestStatus
	.p2align	8
	.type	_Z21device_test_warp_maskILj9EEvP10TestStatus,@function
_Z21device_test_warp_maskILj9EEvP10TestStatus: ; @_Z21device_test_warp_maskILj9EEvP10TestStatus
; %bb.0:
	s_mov_b32 s27, 9
	s_mov_b64 s[24:25], 20
	s_mov_b32 s13, 0
	s_branch .LBB58_3
.LBB58_1:                               ;   in Loop: Header=BB58_3 Depth=1
	s_mov_b32 s40, 0
.LBB58_2:                               ;   in Loop: Header=BB58_3 Depth=1
	s_and_b32 vcc_lo, exec_lo, s12
	s_cbranch_vccnz .LBB58_15
.LBB58_3:                               ; =>This Inner Loop Header: Depth=1
	s_mov_b64 s[2:3], s[24:25]
	s_mov_b32 s28, -1
	s_add_u32 s26, s2, -10
	s_mov_b32 s36, 0
	s_lshl_b64 s[4:5], 1, s26
	s_mov_b32 s40, 0
	s_and_b32 s12, s4, 0x1fe
	s_mov_b32 s39, 0
	s_cmp_lg_u64 s[12:13], 0
	s_mov_b32 s38, 0
	s_mov_b32 s37, 0
	;; [unrolled: 1-line block ×7, first 2 shown]
	s_mov_b32 s12, -1
                                        ; implicit-def: $sgpr24_sgpr25
                                        ; implicit-def: $sgpr30
                                        ; implicit-def: $sgpr4_sgpr5
                                        ; implicit-def: $sgpr6_sgpr7
                                        ; implicit-def: $sgpr8_sgpr9
                                        ; implicit-def: $sgpr10_sgpr11
                                        ; implicit-def: $sgpr14_sgpr15
                                        ; implicit-def: $sgpr16_sgpr17
                                        ; implicit-def: $sgpr18_sgpr19
                                        ; implicit-def: $sgpr20_sgpr21
                                        ; implicit-def: $sgpr22_sgpr23
	s_cbranch_scc1 .LBB58_2
; %bb.4:                                ;   in Loop: Header=BB58_3 Depth=1
	s_add_u32 s4, s2, -9
	s_mov_b32 s29, -1
	s_lshl_b64 s[6:7], 1, s4
	s_mov_b32 s28, 0
	s_and_b32 s12, s6, 0x1fe
                                        ; implicit-def: $sgpr24_sgpr25
                                        ; implicit-def: $sgpr30
                                        ; implicit-def: $sgpr6_sgpr7
                                        ; implicit-def: $sgpr8_sgpr9
                                        ; implicit-def: $sgpr10_sgpr11
                                        ; implicit-def: $sgpr14_sgpr15
                                        ; implicit-def: $sgpr16_sgpr17
                                        ; implicit-def: $sgpr18_sgpr19
                                        ; implicit-def: $sgpr20_sgpr21
                                        ; implicit-def: $sgpr22_sgpr23
	s_delay_alu instid0(SALU_CYCLE_1)
	s_cmp_eq_u64 s[12:13], 0
	s_mov_b32 s12, -1
	s_cbranch_scc0 .LBB58_2
; %bb.5:                                ;   in Loop: Header=BB58_3 Depth=1
	s_add_u32 s6, s2, -8
	s_mov_b32 s31, -1
	s_lshl_b64 s[8:9], 1, s6
	s_mov_b32 s29, 0
	s_and_b32 s12, s8, 0x1fe
                                        ; implicit-def: $sgpr24_sgpr25
                                        ; implicit-def: $sgpr30
                                        ; implicit-def: $sgpr8_sgpr9
                                        ; implicit-def: $sgpr10_sgpr11
                                        ; implicit-def: $sgpr14_sgpr15
                                        ; implicit-def: $sgpr16_sgpr17
                                        ; implicit-def: $sgpr18_sgpr19
                                        ; implicit-def: $sgpr20_sgpr21
                                        ; implicit-def: $sgpr22_sgpr23
	s_delay_alu instid0(SALU_CYCLE_1)
	s_cmp_eq_u64 s[12:13], 0
	s_mov_b32 s12, -1
	s_cbranch_scc0 .LBB58_2
; %bb.6:                                ;   in Loop: Header=BB58_3 Depth=1
	s_add_u32 s8, s2, -7
	s_mov_b32 s33, -1
	s_lshl_b64 s[10:11], 1, s8
	s_mov_b32 s31, 0
	s_and_b32 s12, s10, 0x1fe
                                        ; implicit-def: $sgpr24_sgpr25
                                        ; implicit-def: $sgpr30
                                        ; implicit-def: $sgpr10_sgpr11
                                        ; implicit-def: $sgpr14_sgpr15
                                        ; implicit-def: $sgpr16_sgpr17
                                        ; implicit-def: $sgpr18_sgpr19
                                        ; implicit-def: $sgpr20_sgpr21
                                        ; implicit-def: $sgpr22_sgpr23
	s_delay_alu instid0(SALU_CYCLE_1)
	s_cmp_eq_u64 s[12:13], 0
	s_mov_b32 s12, -1
	s_cbranch_scc0 .LBB58_2
; %bb.7:                                ;   in Loop: Header=BB58_3 Depth=1
	s_add_u32 s10, s2, -6
	s_mov_b32 s34, -1
	s_lshl_b64 s[14:15], 1, s10
	s_mov_b32 s33, 0
	s_and_b32 s12, s14, 0x1fe
                                        ; implicit-def: $sgpr24_sgpr25
                                        ; implicit-def: $sgpr30
                                        ; implicit-def: $sgpr14_sgpr15
                                        ; implicit-def: $sgpr16_sgpr17
                                        ; implicit-def: $sgpr18_sgpr19
                                        ; implicit-def: $sgpr20_sgpr21
                                        ; implicit-def: $sgpr22_sgpr23
	s_delay_alu instid0(SALU_CYCLE_1)
	s_cmp_eq_u64 s[12:13], 0
	s_mov_b32 s12, -1
	s_cbranch_scc0 .LBB58_2
; %bb.8:                                ;   in Loop: Header=BB58_3 Depth=1
	s_add_u32 s14, s2, -5
	s_mov_b32 s35, -1
	s_lshl_b64 s[16:17], 1, s14
	s_mov_b32 s34, 0
	s_and_b32 s12, s16, 0x1fe
                                        ; implicit-def: $sgpr24_sgpr25
                                        ; implicit-def: $sgpr30
                                        ; implicit-def: $sgpr16_sgpr17
                                        ; implicit-def: $sgpr18_sgpr19
                                        ; implicit-def: $sgpr20_sgpr21
                                        ; implicit-def: $sgpr22_sgpr23
	s_delay_alu instid0(SALU_CYCLE_1)
	s_cmp_eq_u64 s[12:13], 0
	s_mov_b32 s12, -1
	s_cbranch_scc0 .LBB58_2
; %bb.9:                                ;   in Loop: Header=BB58_3 Depth=1
	s_add_u32 s16, s2, -4
	s_mov_b32 s37, -1
	s_lshl_b64 s[18:19], 1, s16
	s_mov_b32 s35, 0
	s_and_b32 s12, s18, 0x1fe
                                        ; implicit-def: $sgpr24_sgpr25
                                        ; implicit-def: $sgpr30
                                        ; implicit-def: $sgpr18_sgpr19
                                        ; implicit-def: $sgpr20_sgpr21
                                        ; implicit-def: $sgpr22_sgpr23
	s_delay_alu instid0(SALU_CYCLE_1)
	s_cmp_eq_u64 s[12:13], 0
	s_mov_b32 s12, -1
	s_cbranch_scc0 .LBB58_2
; %bb.10:                               ;   in Loop: Header=BB58_3 Depth=1
	s_add_u32 s18, s2, -3
	s_mov_b32 s38, -1
	s_lshl_b64 s[20:21], 1, s18
	s_mov_b32 s37, 0
	s_and_b32 s12, s20, 0x1fe
                                        ; implicit-def: $sgpr24_sgpr25
                                        ; implicit-def: $sgpr30
                                        ; implicit-def: $sgpr20_sgpr21
                                        ; implicit-def: $sgpr22_sgpr23
	s_delay_alu instid0(SALU_CYCLE_1)
	s_cmp_eq_u64 s[12:13], 0
	s_mov_b32 s12, -1
	s_cbranch_scc0 .LBB58_2
; %bb.11:                               ;   in Loop: Header=BB58_3 Depth=1
	s_add_u32 s20, s2, -2
	s_mov_b32 s39, -1
	s_lshl_b64 s[22:23], 1, s20
	s_mov_b32 s38, 0
	s_and_b32 s12, s22, 0x1fe
                                        ; implicit-def: $sgpr24_sgpr25
                                        ; implicit-def: $sgpr30
                                        ; implicit-def: $sgpr22_sgpr23
	s_delay_alu instid0(SALU_CYCLE_1)
	s_cmp_eq_u64 s[12:13], 0
	s_mov_b32 s12, -1
	s_cbranch_scc0 .LBB58_2
; %bb.12:                               ;   in Loop: Header=BB58_3 Depth=1
	s_add_u32 s22, s2, -1
	s_mov_b32 s40, -1
	s_lshl_b64 s[24:25], 1, s22
	s_mov_b32 s39, 0
	s_and_b32 s12, s24, 0x1fe
                                        ; implicit-def: $sgpr24_sgpr25
                                        ; implicit-def: $sgpr30
	s_delay_alu instid0(SALU_CYCLE_1)
	s_cmp_eq_u64 s[12:13], 0
	s_mov_b32 s12, -1
	s_cbranch_scc0 .LBB58_2
; %bb.13:                               ;   in Loop: Header=BB58_3 Depth=1
	s_mov_b32 s36, -1
	s_cmp_lg_u32 s2, 64
                                        ; implicit-def: $sgpr24_sgpr25
                                        ; implicit-def: $sgpr30
	s_cbranch_scc0 .LBB58_1
; %bb.14:                               ;   in Loop: Header=BB58_3 Depth=1
	s_lshl_b64 s[24:25], 1, s2
	s_add_i32 s30, s27, 10
	s_and_b32 s12, s24, 0x1fe
	s_mov_b32 s36, 0
	s_cmp_lg_u64 s[12:13], 0
	s_cselect_b32 s12, -1, 0
	s_add_u32 s24, s2, 11
	s_addc_u32 s25, s3, 0
	s_add_i32 s27, s27, 11
	s_branch .LBB58_1
.LBB58_15:
	s_and_b32 vcc_lo, exec_lo, s28
	s_mov_b32 s3, -1
	s_cbranch_vccnz .LBB58_61
; %bb.16:
	s_xor_b32 s3, s29, -1
	s_delay_alu instid0(SALU_CYCLE_1)
	s_and_not1_b32 vcc_lo, exec_lo, s3
	s_cbranch_vccnz .LBB58_28
; %bb.17:
	s_xor_b32 s3, s31, -1
	s_delay_alu instid0(SALU_CYCLE_1)
	s_and_not1_b32 vcc_lo, exec_lo, s3
	;; [unrolled: 5-line block ×9, first 2 shown]
	s_cbranch_vccnz .LBB58_36
; %bb.25:
	s_and_b32 vcc_lo, exec_lo, s36
	s_cbranch_vccz .LBB58_27
; %bb.26:
	s_mov_b32 s30, s22
.LBB58_27:
	s_mov_b32 s3, 0
	s_branch .LBB58_37
.LBB58_28:
                                        ; implicit-def: $sgpr30
	s_branch .LBB58_59
.LBB58_29:
                                        ; implicit-def: $sgpr30
	s_branch .LBB58_57
.LBB58_30:
                                        ; implicit-def: $sgpr30
	s_branch .LBB58_55
.LBB58_31:
	s_mov_b32 s3, -1
                                        ; implicit-def: $sgpr30
	s_branch .LBB58_52
.LBB58_32:
	s_mov_b32 s3, -1
                                        ; implicit-def: $sgpr30
	s_branch .LBB58_49
.LBB58_33:
	s_mov_b32 s3, -1
                                        ; implicit-def: $sgpr30
	s_branch .LBB58_46
.LBB58_34:
	s_mov_b32 s3, -1
                                        ; implicit-def: $sgpr30
	s_branch .LBB58_43
.LBB58_35:
	s_mov_b32 s3, -1
                                        ; implicit-def: $sgpr30
	s_branch .LBB58_40
.LBB58_36:
	s_mov_b32 s3, -1
                                        ; implicit-def: $sgpr30
.LBB58_37:
	s_delay_alu instid0(SALU_CYCLE_1)
	s_and_not1_b32 vcc_lo, exec_lo, s3
	s_cbranch_vccnz .LBB58_39
; %bb.38:
	s_mov_b32 s30, s20
.LBB58_39:
	s_mov_b32 s3, 0
.LBB58_40:
	s_delay_alu instid0(SALU_CYCLE_1)
	s_and_not1_b32 vcc_lo, exec_lo, s3
	s_cbranch_vccnz .LBB58_42
; %bb.41:
	s_mov_b32 s30, s18
.LBB58_42:
	s_mov_b32 s3, 0
.LBB58_43:
	s_delay_alu instid0(SALU_CYCLE_1)
	s_and_not1_b32 vcc_lo, exec_lo, s3
	s_cbranch_vccnz .LBB58_45
; %bb.44:
	s_mov_b32 s30, s16
.LBB58_45:
	s_mov_b32 s3, 0
.LBB58_46:
	s_delay_alu instid0(SALU_CYCLE_1)
	s_and_not1_b32 vcc_lo, exec_lo, s3
	s_cbranch_vccnz .LBB58_48
; %bb.47:
	s_mov_b32 s30, s14
.LBB58_48:
	s_mov_b32 s3, 0
.LBB58_49:
	s_delay_alu instid0(SALU_CYCLE_1)
	s_and_not1_b32 vcc_lo, exec_lo, s3
	s_cbranch_vccnz .LBB58_51
; %bb.50:
	s_mov_b32 s30, s10
.LBB58_51:
	s_mov_b32 s3, 0
.LBB58_52:
	s_delay_alu instid0(SALU_CYCLE_1)
	s_and_not1_b32 vcc_lo, exec_lo, s3
	s_cbranch_vccnz .LBB58_54
; %bb.53:
	s_mov_b32 s30, s8
.LBB58_54:
	s_cbranch_execnz .LBB58_56
.LBB58_55:
	s_mov_b32 s30, s6
.LBB58_56:
	s_cbranch_execnz .LBB58_58
.LBB58_57:
	s_mov_b32 s30, s4
.LBB58_58:
	s_cbranch_execnz .LBB58_60
.LBB58_59:
	s_mov_b32 s30, s26
.LBB58_60:
	s_mov_b32 s3, 0
.LBB58_61:
	s_delay_alu instid0(SALU_CYCLE_1)
	s_and_not1_b32 vcc_lo, exec_lo, s3
	s_cbranch_vccnz .LBB58_63
; %bb.62:
	s_add_i32 s30, s2, -11
.LBB58_63:
	s_load_b64 s[0:1], s[0:1], 0x0
	s_cmp_gt_u32 s30, 62
	s_cselect_b32 s2, -1, 0
	s_delay_alu instid0(SALU_CYCLE_1)
	v_cndmask_b32_e64 v1, 0, 1, s2
	s_waitcnt lgkmcnt(0)
	global_store_b8 v0, v1, s[0:1]
	s_nop 0
	s_sendmsg sendmsg(MSG_DEALLOC_VGPRS)
	s_endpgm
	.section	.rodata,"a",@progbits
	.p2align	6, 0x0
	.amdhsa_kernel _Z21device_test_warp_maskILj9EEvP10TestStatus
		.amdhsa_group_segment_fixed_size 0
		.amdhsa_private_segment_fixed_size 0
		.amdhsa_kernarg_size 8
		.amdhsa_user_sgpr_count 15
		.amdhsa_user_sgpr_dispatch_ptr 0
		.amdhsa_user_sgpr_queue_ptr 0
		.amdhsa_user_sgpr_kernarg_segment_ptr 1
		.amdhsa_user_sgpr_dispatch_id 0
		.amdhsa_user_sgpr_private_segment_size 0
		.amdhsa_wavefront_size32 1
		.amdhsa_uses_dynamic_stack 0
		.amdhsa_enable_private_segment 0
		.amdhsa_system_sgpr_workgroup_id_x 1
		.amdhsa_system_sgpr_workgroup_id_y 0
		.amdhsa_system_sgpr_workgroup_id_z 0
		.amdhsa_system_sgpr_workgroup_info 0
		.amdhsa_system_vgpr_workitem_id 0
		.amdhsa_next_free_vgpr 2
		.amdhsa_next_free_sgpr 41
		.amdhsa_reserve_vcc 1
		.amdhsa_float_round_mode_32 0
		.amdhsa_float_round_mode_16_64 0
		.amdhsa_float_denorm_mode_32 3
		.amdhsa_float_denorm_mode_16_64 3
		.amdhsa_dx10_clamp 1
		.amdhsa_ieee_mode 1
		.amdhsa_fp16_overflow 0
		.amdhsa_workgroup_processor_mode 1
		.amdhsa_memory_ordered 1
		.amdhsa_forward_progress 0
		.amdhsa_shared_vgpr_count 0
		.amdhsa_exception_fp_ieee_invalid_op 0
		.amdhsa_exception_fp_denorm_src 0
		.amdhsa_exception_fp_ieee_div_zero 0
		.amdhsa_exception_fp_ieee_overflow 0
		.amdhsa_exception_fp_ieee_underflow 0
		.amdhsa_exception_fp_ieee_inexact 0
		.amdhsa_exception_int_div_zero 0
	.end_amdhsa_kernel
	.section	.text._Z21device_test_warp_maskILj9EEvP10TestStatus,"axG",@progbits,_Z21device_test_warp_maskILj9EEvP10TestStatus,comdat
.Lfunc_end58:
	.size	_Z21device_test_warp_maskILj9EEvP10TestStatus, .Lfunc_end58-_Z21device_test_warp_maskILj9EEvP10TestStatus
                                        ; -- End function
	.section	.AMDGPU.csdata,"",@progbits
; Kernel info:
; codeLenInByte = 964
; NumSgprs: 43
; NumVgprs: 2
; ScratchSize: 0
; MemoryBound: 0
; FloatMode: 240
; IeeeMode: 1
; LDSByteSize: 0 bytes/workgroup (compile time only)
; SGPRBlocks: 5
; VGPRBlocks: 0
; NumSGPRsForWavesPerEU: 43
; NumVGPRsForWavesPerEU: 2
; Occupancy: 16
; WaveLimiterHint : 0
; COMPUTE_PGM_RSRC2:SCRATCH_EN: 0
; COMPUTE_PGM_RSRC2:USER_SGPR: 15
; COMPUTE_PGM_RSRC2:TRAP_HANDLER: 0
; COMPUTE_PGM_RSRC2:TGID_X_EN: 1
; COMPUTE_PGM_RSRC2:TGID_Y_EN: 0
; COMPUTE_PGM_RSRC2:TGID_Z_EN: 0
; COMPUTE_PGM_RSRC2:TIDIG_COMP_CNT: 0
	.section	.text._Z21device_test_warp_maskILj10EEvP10TestStatus,"axG",@progbits,_Z21device_test_warp_maskILj10EEvP10TestStatus,comdat
	.protected	_Z21device_test_warp_maskILj10EEvP10TestStatus ; -- Begin function _Z21device_test_warp_maskILj10EEvP10TestStatus
	.globl	_Z21device_test_warp_maskILj10EEvP10TestStatus
	.p2align	8
	.type	_Z21device_test_warp_maskILj10EEvP10TestStatus,@function
_Z21device_test_warp_maskILj10EEvP10TestStatus: ; @_Z21device_test_warp_maskILj10EEvP10TestStatus
; %bb.0:
	s_mov_b32 s23, 10
	s_mov_b64 s[20:21], 19
	s_mov_b32 s11, 0
	s_branch .LBB59_3
.LBB59_1:                               ;   in Loop: Header=BB59_3 Depth=1
	s_mov_b32 s34, 0
.LBB59_2:                               ;   in Loop: Header=BB59_3 Depth=1
	s_and_b32 vcc_lo, exec_lo, s10
	s_cbranch_vccnz .LBB59_13
.LBB59_3:                               ; =>This Inner Loop Header: Depth=1
	s_mov_b64 s[2:3], s[20:21]
	s_mov_b32 s25, -1
	s_add_u32 s22, s2, -8
	s_mov_b32 s31, 0
	s_lshl_b64 s[4:5], 1, s22
	s_mov_b32 s34, 0
	s_and_b32 s10, s4, 0x3fe
	s_mov_b32 s33, 0
	s_cmp_lg_u64 s[10:11], 0
	s_mov_b32 s30, 0
	s_mov_b32 s29, 0
	;; [unrolled: 1-line block ×5, first 2 shown]
	s_mov_b32 s10, -1
                                        ; implicit-def: $sgpr20_sgpr21
                                        ; implicit-def: $sgpr24
                                        ; implicit-def: $sgpr4_sgpr5
                                        ; implicit-def: $sgpr6_sgpr7
                                        ; implicit-def: $sgpr8_sgpr9
                                        ; implicit-def: $sgpr12_sgpr13
                                        ; implicit-def: $sgpr14_sgpr15
                                        ; implicit-def: $sgpr16_sgpr17
                                        ; implicit-def: $sgpr18_sgpr19
	s_cbranch_scc1 .LBB59_2
; %bb.4:                                ;   in Loop: Header=BB59_3 Depth=1
	s_add_u32 s4, s2, -7
	s_mov_b32 s26, -1
	s_lshl_b64 s[6:7], 1, s4
	s_mov_b32 s25, 0
	s_and_b32 s10, s6, 0x3fe
                                        ; implicit-def: $sgpr20_sgpr21
                                        ; implicit-def: $sgpr24
                                        ; implicit-def: $sgpr6_sgpr7
                                        ; implicit-def: $sgpr8_sgpr9
                                        ; implicit-def: $sgpr12_sgpr13
                                        ; implicit-def: $sgpr14_sgpr15
                                        ; implicit-def: $sgpr16_sgpr17
                                        ; implicit-def: $sgpr18_sgpr19
	s_delay_alu instid0(SALU_CYCLE_1)
	s_cmp_eq_u64 s[10:11], 0
	s_mov_b32 s10, -1
	s_cbranch_scc0 .LBB59_2
; %bb.5:                                ;   in Loop: Header=BB59_3 Depth=1
	s_add_u32 s6, s2, -6
	s_mov_b32 s27, -1
	s_lshl_b64 s[8:9], 1, s6
	s_mov_b32 s26, 0
	s_and_b32 s10, s8, 0x3fe
                                        ; implicit-def: $sgpr20_sgpr21
                                        ; implicit-def: $sgpr24
                                        ; implicit-def: $sgpr8_sgpr9
                                        ; implicit-def: $sgpr12_sgpr13
                                        ; implicit-def: $sgpr14_sgpr15
                                        ; implicit-def: $sgpr16_sgpr17
                                        ; implicit-def: $sgpr18_sgpr19
	s_delay_alu instid0(SALU_CYCLE_1)
	s_cmp_eq_u64 s[10:11], 0
	s_mov_b32 s10, -1
	s_cbranch_scc0 .LBB59_2
; %bb.6:                                ;   in Loop: Header=BB59_3 Depth=1
	s_add_u32 s8, s2, -5
	s_mov_b32 s28, -1
	s_lshl_b64 s[12:13], 1, s8
	s_mov_b32 s27, 0
	s_and_b32 s10, s12, 0x3fe
                                        ; implicit-def: $sgpr20_sgpr21
                                        ; implicit-def: $sgpr24
                                        ; implicit-def: $sgpr12_sgpr13
                                        ; implicit-def: $sgpr14_sgpr15
                                        ; implicit-def: $sgpr16_sgpr17
                                        ; implicit-def: $sgpr18_sgpr19
	s_delay_alu instid0(SALU_CYCLE_1)
	s_cmp_eq_u64 s[10:11], 0
	s_mov_b32 s10, -1
	s_cbranch_scc0 .LBB59_2
; %bb.7:                                ;   in Loop: Header=BB59_3 Depth=1
	s_add_u32 s12, s2, -4
	s_mov_b32 s29, -1
	s_lshl_b64 s[14:15], 1, s12
	s_mov_b32 s28, 0
	s_and_b32 s10, s14, 0x3fe
                                        ; implicit-def: $sgpr20_sgpr21
                                        ; implicit-def: $sgpr24
                                        ; implicit-def: $sgpr14_sgpr15
                                        ; implicit-def: $sgpr16_sgpr17
                                        ; implicit-def: $sgpr18_sgpr19
	s_delay_alu instid0(SALU_CYCLE_1)
	s_cmp_eq_u64 s[10:11], 0
	s_mov_b32 s10, -1
	s_cbranch_scc0 .LBB59_2
; %bb.8:                                ;   in Loop: Header=BB59_3 Depth=1
	s_add_u32 s14, s2, -3
	s_mov_b32 s30, -1
	s_lshl_b64 s[16:17], 1, s14
	s_mov_b32 s29, 0
	s_and_b32 s10, s16, 0x3fe
                                        ; implicit-def: $sgpr20_sgpr21
                                        ; implicit-def: $sgpr24
                                        ; implicit-def: $sgpr16_sgpr17
                                        ; implicit-def: $sgpr18_sgpr19
	s_delay_alu instid0(SALU_CYCLE_1)
	s_cmp_eq_u64 s[10:11], 0
	s_mov_b32 s10, -1
	s_cbranch_scc0 .LBB59_2
; %bb.9:                                ;   in Loop: Header=BB59_3 Depth=1
	s_add_u32 s16, s2, -2
	s_mov_b32 s33, -1
	s_lshl_b64 s[18:19], 1, s16
	s_mov_b32 s30, 0
	s_and_b32 s10, s18, 0x3fe
                                        ; implicit-def: $sgpr20_sgpr21
                                        ; implicit-def: $sgpr24
                                        ; implicit-def: $sgpr18_sgpr19
	s_delay_alu instid0(SALU_CYCLE_1)
	s_cmp_eq_u64 s[10:11], 0
	s_mov_b32 s10, -1
	s_cbranch_scc0 .LBB59_2
; %bb.10:                               ;   in Loop: Header=BB59_3 Depth=1
	s_add_u32 s18, s2, -1
	s_mov_b32 s34, -1
	s_lshl_b64 s[20:21], 1, s18
	s_mov_b32 s33, 0
	s_and_b32 s10, s20, 0x3fe
                                        ; implicit-def: $sgpr20_sgpr21
                                        ; implicit-def: $sgpr24
	s_delay_alu instid0(SALU_CYCLE_1)
	s_cmp_eq_u64 s[10:11], 0
	s_mov_b32 s10, -1
	s_cbranch_scc0 .LBB59_2
; %bb.11:                               ;   in Loop: Header=BB59_3 Depth=1
	s_mov_b32 s31, -1
	s_cmp_lg_u32 s2, 64
                                        ; implicit-def: $sgpr20_sgpr21
                                        ; implicit-def: $sgpr24
	s_cbranch_scc0 .LBB59_1
; %bb.12:                               ;   in Loop: Header=BB59_3 Depth=1
	s_lshl_b64 s[20:21], 1, s2
	s_add_i32 s24, s23, 8
	s_and_b32 s10, s20, 0x3fe
	s_mov_b32 s31, 0
	s_cmp_lg_u64 s[10:11], 0
	s_cselect_b32 s10, -1, 0
	s_add_u32 s20, s2, 9
	s_addc_u32 s21, s3, 0
	s_add_i32 s23, s23, 9
	s_branch .LBB59_1
.LBB59_13:
	s_and_b32 vcc_lo, exec_lo, s25
	s_mov_b32 s3, -1
	s_cbranch_vccnz .LBB59_49
; %bb.14:
	s_xor_b32 s3, s26, -1
	s_delay_alu instid0(SALU_CYCLE_1)
	s_and_not1_b32 vcc_lo, exec_lo, s3
	s_cbranch_vccnz .LBB59_24
; %bb.15:
	s_xor_b32 s3, s27, -1
	s_delay_alu instid0(SALU_CYCLE_1)
	s_and_not1_b32 vcc_lo, exec_lo, s3
	s_cbranch_vccnz .LBB59_25
; %bb.16:
	s_xor_b32 s3, s28, -1
	s_delay_alu instid0(SALU_CYCLE_1)
	s_and_not1_b32 vcc_lo, exec_lo, s3
	s_cbranch_vccnz .LBB59_26
; %bb.17:
	s_xor_b32 s3, s29, -1
	s_delay_alu instid0(SALU_CYCLE_1)
	s_and_not1_b32 vcc_lo, exec_lo, s3
	s_cbranch_vccnz .LBB59_27
; %bb.18:
	s_xor_b32 s3, s30, -1
	s_delay_alu instid0(SALU_CYCLE_1)
	s_and_not1_b32 vcc_lo, exec_lo, s3
	s_cbranch_vccnz .LBB59_28
; %bb.19:
	s_xor_b32 s3, s33, -1
	s_delay_alu instid0(SALU_CYCLE_1)
	s_and_not1_b32 vcc_lo, exec_lo, s3
	s_cbranch_vccnz .LBB59_29
; %bb.20:
	s_xor_b32 s3, s34, -1
	s_delay_alu instid0(SALU_CYCLE_1)
	s_and_not1_b32 vcc_lo, exec_lo, s3
	s_cbranch_vccnz .LBB59_30
; %bb.21:
	s_and_b32 vcc_lo, exec_lo, s31
	s_cbranch_vccz .LBB59_23
; %bb.22:
	s_mov_b32 s24, s18
.LBB59_23:
	s_mov_b32 s3, 0
	s_branch .LBB59_31
.LBB59_24:
                                        ; implicit-def: $sgpr24
	s_branch .LBB59_47
.LBB59_25:
                                        ; implicit-def: $sgpr24
	s_branch .LBB59_45
.LBB59_26:
                                        ; implicit-def: $sgpr24
	s_branch .LBB59_43
.LBB59_27:
	s_mov_b32 s3, -1
                                        ; implicit-def: $sgpr24
	s_branch .LBB59_40
.LBB59_28:
	s_mov_b32 s3, -1
                                        ; implicit-def: $sgpr24
	s_branch .LBB59_37
.LBB59_29:
	s_mov_b32 s3, -1
                                        ; implicit-def: $sgpr24
	s_branch .LBB59_34
.LBB59_30:
	s_mov_b32 s3, -1
                                        ; implicit-def: $sgpr24
.LBB59_31:
	s_delay_alu instid0(SALU_CYCLE_1)
	s_and_not1_b32 vcc_lo, exec_lo, s3
	s_cbranch_vccnz .LBB59_33
; %bb.32:
	s_mov_b32 s24, s16
.LBB59_33:
	s_mov_b32 s3, 0
.LBB59_34:
	s_delay_alu instid0(SALU_CYCLE_1)
	s_and_not1_b32 vcc_lo, exec_lo, s3
	s_cbranch_vccnz .LBB59_36
; %bb.35:
	s_mov_b32 s24, s14
.LBB59_36:
	s_mov_b32 s3, 0
.LBB59_37:
	s_delay_alu instid0(SALU_CYCLE_1)
	s_and_not1_b32 vcc_lo, exec_lo, s3
	s_cbranch_vccnz .LBB59_39
; %bb.38:
	s_mov_b32 s24, s12
.LBB59_39:
	s_mov_b32 s3, 0
.LBB59_40:
	s_delay_alu instid0(SALU_CYCLE_1)
	s_and_not1_b32 vcc_lo, exec_lo, s3
	s_cbranch_vccnz .LBB59_42
; %bb.41:
	s_mov_b32 s24, s8
.LBB59_42:
	s_cbranch_execnz .LBB59_44
.LBB59_43:
	s_mov_b32 s24, s6
.LBB59_44:
	s_cbranch_execnz .LBB59_46
.LBB59_45:
	s_mov_b32 s24, s4
.LBB59_46:
	s_cbranch_execnz .LBB59_48
.LBB59_47:
	s_mov_b32 s24, s22
.LBB59_48:
	s_mov_b32 s3, 0
.LBB59_49:
	s_delay_alu instid0(SALU_CYCLE_1)
	s_and_not1_b32 vcc_lo, exec_lo, s3
	s_cbranch_vccnz .LBB59_51
; %bb.50:
	s_add_i32 s24, s2, -9
.LBB59_51:
	s_load_b64 s[0:1], s[0:1], 0x0
	s_cmp_gt_u32 s24, 62
	s_cselect_b32 s2, -1, 0
	s_delay_alu instid0(SALU_CYCLE_1)
	v_cndmask_b32_e64 v1, 0, 1, s2
	s_waitcnt lgkmcnt(0)
	global_store_b8 v0, v1, s[0:1]
	s_nop 0
	s_sendmsg sendmsg(MSG_DEALLOC_VGPRS)
	s_endpgm
	.section	.rodata,"a",@progbits
	.p2align	6, 0x0
	.amdhsa_kernel _Z21device_test_warp_maskILj10EEvP10TestStatus
		.amdhsa_group_segment_fixed_size 0
		.amdhsa_private_segment_fixed_size 0
		.amdhsa_kernarg_size 8
		.amdhsa_user_sgpr_count 15
		.amdhsa_user_sgpr_dispatch_ptr 0
		.amdhsa_user_sgpr_queue_ptr 0
		.amdhsa_user_sgpr_kernarg_segment_ptr 1
		.amdhsa_user_sgpr_dispatch_id 0
		.amdhsa_user_sgpr_private_segment_size 0
		.amdhsa_wavefront_size32 1
		.amdhsa_uses_dynamic_stack 0
		.amdhsa_enable_private_segment 0
		.amdhsa_system_sgpr_workgroup_id_x 1
		.amdhsa_system_sgpr_workgroup_id_y 0
		.amdhsa_system_sgpr_workgroup_id_z 0
		.amdhsa_system_sgpr_workgroup_info 0
		.amdhsa_system_vgpr_workitem_id 0
		.amdhsa_next_free_vgpr 2
		.amdhsa_next_free_sgpr 35
		.amdhsa_reserve_vcc 1
		.amdhsa_float_round_mode_32 0
		.amdhsa_float_round_mode_16_64 0
		.amdhsa_float_denorm_mode_32 3
		.amdhsa_float_denorm_mode_16_64 3
		.amdhsa_dx10_clamp 1
		.amdhsa_ieee_mode 1
		.amdhsa_fp16_overflow 0
		.amdhsa_workgroup_processor_mode 1
		.amdhsa_memory_ordered 1
		.amdhsa_forward_progress 0
		.amdhsa_shared_vgpr_count 0
		.amdhsa_exception_fp_ieee_invalid_op 0
		.amdhsa_exception_fp_denorm_src 0
		.amdhsa_exception_fp_ieee_div_zero 0
		.amdhsa_exception_fp_ieee_overflow 0
		.amdhsa_exception_fp_ieee_underflow 0
		.amdhsa_exception_fp_ieee_inexact 0
		.amdhsa_exception_int_div_zero 0
	.end_amdhsa_kernel
	.section	.text._Z21device_test_warp_maskILj10EEvP10TestStatus,"axG",@progbits,_Z21device_test_warp_maskILj10EEvP10TestStatus,comdat
.Lfunc_end59:
	.size	_Z21device_test_warp_maskILj10EEvP10TestStatus, .Lfunc_end59-_Z21device_test_warp_maskILj10EEvP10TestStatus
                                        ; -- End function
	.section	.AMDGPU.csdata,"",@progbits
; Kernel info:
; codeLenInByte = 788
; NumSgprs: 37
; NumVgprs: 2
; ScratchSize: 0
; MemoryBound: 0
; FloatMode: 240
; IeeeMode: 1
; LDSByteSize: 0 bytes/workgroup (compile time only)
; SGPRBlocks: 4
; VGPRBlocks: 0
; NumSGPRsForWavesPerEU: 37
; NumVGPRsForWavesPerEU: 2
; Occupancy: 16
; WaveLimiterHint : 0
; COMPUTE_PGM_RSRC2:SCRATCH_EN: 0
; COMPUTE_PGM_RSRC2:USER_SGPR: 15
; COMPUTE_PGM_RSRC2:TRAP_HANDLER: 0
; COMPUTE_PGM_RSRC2:TGID_X_EN: 1
; COMPUTE_PGM_RSRC2:TGID_Y_EN: 0
; COMPUTE_PGM_RSRC2:TGID_Z_EN: 0
; COMPUTE_PGM_RSRC2:TIDIG_COMP_CNT: 0
	.section	.text._Z21device_test_warp_maskILj11EEvP10TestStatus,"axG",@progbits,_Z21device_test_warp_maskILj11EEvP10TestStatus,comdat
	.protected	_Z21device_test_warp_maskILj11EEvP10TestStatus ; -- Begin function _Z21device_test_warp_maskILj11EEvP10TestStatus
	.globl	_Z21device_test_warp_maskILj11EEvP10TestStatus
	.p2align	8
	.type	_Z21device_test_warp_maskILj11EEvP10TestStatus,@function
_Z21device_test_warp_maskILj11EEvP10TestStatus: ; @_Z21device_test_warp_maskILj11EEvP10TestStatus
; %bb.0:
	s_mov_b32 s19, 11
	s_mov_b64 s[16:17], 19
	s_mov_b32 s11, 0
	s_branch .LBB60_3
.LBB60_1:                               ;   in Loop: Header=BB60_3 Depth=1
	s_add_i32 s10, s19, 4
	s_mov_b32 s25, -1
                                        ; implicit-def: $sgpr19
                                        ; implicit-def: $sgpr16_sgpr17
                                        ; implicit-def: $sgpr12_sgpr13
                                        ; implicit-def: $sgpr14_sgpr15
.LBB60_2:                               ;   in Loop: Header=BB60_3 Depth=1
	s_and_b32 vcc_lo, exec_lo, s28
	s_cbranch_vccnz .LBB60_14
.LBB60_3:                               ; =>This Inner Loop Header: Depth=1
	s_mov_b64 s[2:3], s[16:17]
	s_mov_b32 s26, 0
	s_add_u32 s18, s2, -7
	s_mov_b32 s27, 0
	s_lshl_b64 s[4:5], 1, s18
	s_mov_b32 s24, 0
	s_and_b32 s10, s4, 0x7fe
	s_mov_b32 s25, 0
	s_cmp_lg_u64 s[10:11], 0
	s_mov_b32 s23, 0
	s_mov_b32 s22, 0
	;; [unrolled: 1-line block ×3, first 2 shown]
	s_mov_b32 s21, -1
	s_mov_b32 s28, -1
                                        ; implicit-def: $sgpr16_sgpr17
                                        ; implicit-def: $sgpr10
                                        ; implicit-def: $sgpr4_sgpr5
                                        ; implicit-def: $sgpr6_sgpr7
                                        ; implicit-def: $sgpr8_sgpr9
                                        ; implicit-def: $sgpr12_sgpr13
                                        ; implicit-def: $sgpr14_sgpr15
	s_cbranch_scc1 .LBB60_2
; %bb.4:                                ;   in Loop: Header=BB60_3 Depth=1
	s_add_u32 s4, s2, -6
	s_mov_b32 s20, -1
	s_lshl_b64 s[6:7], 1, s4
	s_mov_b32 s21, 0
	s_and_b32 s10, s6, 0x7fe
                                        ; implicit-def: $sgpr16_sgpr17
                                        ; implicit-def: $sgpr6_sgpr7
                                        ; implicit-def: $sgpr8_sgpr9
                                        ; implicit-def: $sgpr12_sgpr13
                                        ; implicit-def: $sgpr14_sgpr15
	s_delay_alu instid0(SALU_CYCLE_1)
	s_cmp_eq_u64 s[10:11], 0
                                        ; implicit-def: $sgpr10
	s_cbranch_scc0 .LBB60_2
; %bb.5:                                ;   in Loop: Header=BB60_3 Depth=1
	s_add_u32 s6, s2, -5
	s_mov_b32 s22, -1
	s_lshl_b64 s[8:9], 1, s6
	s_mov_b32 s20, 0
	s_and_b32 s10, s8, 0x7fe
                                        ; implicit-def: $sgpr16_sgpr17
                                        ; implicit-def: $sgpr8_sgpr9
                                        ; implicit-def: $sgpr12_sgpr13
                                        ; implicit-def: $sgpr14_sgpr15
	s_delay_alu instid0(SALU_CYCLE_1)
	s_cmp_eq_u64 s[10:11], 0
                                        ; implicit-def: $sgpr10
	s_cbranch_scc0 .LBB60_2
; %bb.6:                                ;   in Loop: Header=BB60_3 Depth=1
	s_add_u32 s8, s2, -4
	s_mov_b32 s23, -1
	s_lshl_b64 s[12:13], 1, s8
	s_mov_b32 s22, 0
	s_and_b32 s10, s12, 0x7fe
                                        ; implicit-def: $sgpr16_sgpr17
                                        ; implicit-def: $sgpr12_sgpr13
                                        ; implicit-def: $sgpr14_sgpr15
	s_delay_alu instid0(SALU_CYCLE_1)
	s_cmp_eq_u64 s[10:11], 0
                                        ; implicit-def: $sgpr10
	s_cbranch_scc0 .LBB60_2
; %bb.7:                                ;   in Loop: Header=BB60_3 Depth=1
	s_cmpk_lg_i32 s2, 0x43
	s_mov_b32 s23, 0
	s_cbranch_scc0 .LBB60_1
; %bb.8:                                ;   in Loop: Header=BB60_3 Depth=1
	s_add_u32 s12, s2, -3
	s_mov_b32 s24, -1
	s_lshl_b64 s[14:15], 1, s12
                                        ; implicit-def: $sgpr16_sgpr17
	s_delay_alu instid0(SALU_CYCLE_1) | instskip(NEXT) | instid1(SALU_CYCLE_1)
	s_and_b32 s10, s14, 0x7fe
                                        ; implicit-def: $sgpr14_sgpr15
	s_cmp_eq_u64 s[10:11], 0
	s_cbranch_scc0 .LBB60_10
; %bb.9:                                ;   in Loop: Header=BB60_3 Depth=1
	s_add_u32 s14, s2, -2
	s_mov_b32 s27, -1
	s_lshl_b64 s[16:17], 1, s14
	s_mov_b32 s24, 0
	s_and_b32 s10, s16, 0x7fe
                                        ; implicit-def: $sgpr16_sgpr17
	s_delay_alu instid0(SALU_CYCLE_1)
	s_cmp_eq_u64 s[10:11], 0
	s_cbranch_scc1 .LBB60_11
.LBB60_10:                              ;   in Loop: Header=BB60_3 Depth=1
                                        ; implicit-def: $sgpr10
	s_branch .LBB60_2
.LBB60_11:                              ;   in Loop: Header=BB60_3 Depth=1
	s_add_i32 s5, s2, -1
	s_mov_b32 s26, -1
	s_lshl_b64 s[16:17], 1, s5
	s_delay_alu instid0(SALU_CYCLE_1) | instskip(NEXT) | instid1(SALU_CYCLE_1)
	s_and_b32 s10, s16, 0x7fe
                                        ; implicit-def: $sgpr16_sgpr17
	s_cmp_eq_u64 s[10:11], 0
	s_cbranch_scc1 .LBB60_13
; %bb.12:                               ;   in Loop: Header=BB60_3 Depth=1
	s_mov_b32 s27, 0
                                        ; implicit-def: $sgpr10
	s_branch .LBB60_2
.LBB60_13:                              ;   in Loop: Header=BB60_3 Depth=1
	s_lshl_b64 s[16:17], 1, s2
	s_add_i32 s19, s19, 8
	s_and_b32 s10, s16, 0x7fe
	s_mov_b32 s26, 0
	s_cmp_lg_u64 s[10:11], 0
	s_mov_b32 s27, 0
	s_cselect_b32 s28, -1, 0
	s_add_u32 s16, s2, 8
	s_addc_u32 s17, s3, 0
                                        ; implicit-def: $sgpr10
	s_branch .LBB60_2
.LBB60_14:
	s_and_b32 vcc_lo, exec_lo, s21
	s_mov_b32 s3, -1
	s_cbranch_vccnz .LBB60_44
; %bb.15:
	s_xor_b32 s3, s20, -1
	s_delay_alu instid0(SALU_CYCLE_1)
	s_and_not1_b32 vcc_lo, exec_lo, s3
	s_cbranch_vccnz .LBB60_23
; %bb.16:
	s_xor_b32 s3, s22, -1
	s_delay_alu instid0(SALU_CYCLE_1)
	s_and_not1_b32 vcc_lo, exec_lo, s3
	;; [unrolled: 5-line block ×6, first 2 shown]
	s_cbranch_vccnz .LBB60_27
; %bb.21:
	s_xor_b32 s3, s26, -1
	s_delay_alu instid0(SALU_CYCLE_1)
	s_and_b32 vcc_lo, exec_lo, s3
	s_cbranch_vccz .LBB60_28
; %bb.22:
	s_add_i32 s10, s16, -9
	s_mov_b32 s3, 0
	s_branch .LBB60_29
.LBB60_23:
                                        ; implicit-def: $sgpr10
	s_branch .LBB60_42
.LBB60_24:
                                        ; implicit-def: $sgpr10
	s_branch .LBB60_40
.LBB60_25:
                                        ; implicit-def: $sgpr10
	s_branch .LBB60_38
.LBB60_26:
	s_mov_b32 s3, -1
                                        ; implicit-def: $sgpr10
	s_branch .LBB60_35
.LBB60_27:
	s_mov_b32 s3, -1
                                        ; implicit-def: $sgpr10
	s_branch .LBB60_32
.LBB60_28:
	s_mov_b32 s3, -1
                                        ; implicit-def: $sgpr10
.LBB60_29:
	s_delay_alu instid0(SALU_CYCLE_1)
	s_and_not1_b32 vcc_lo, exec_lo, s3
	s_cbranch_vccnz .LBB60_31
; %bb.30:
	s_mov_b32 s10, s14
.LBB60_31:
	s_mov_b32 s3, 0
.LBB60_32:
	s_delay_alu instid0(SALU_CYCLE_1)
	s_and_not1_b32 vcc_lo, exec_lo, s3
	s_cbranch_vccnz .LBB60_34
; %bb.33:
	s_mov_b32 s10, s12
.LBB60_34:
	s_mov_b32 s3, 0
.LBB60_35:
	s_delay_alu instid0(SALU_CYCLE_1)
	s_and_not1_b32 vcc_lo, exec_lo, s3
	s_cbranch_vccnz .LBB60_37
; %bb.36:
	s_mov_b32 s10, s8
.LBB60_37:
	s_cbranch_execnz .LBB60_39
.LBB60_38:
	s_mov_b32 s10, s6
.LBB60_39:
	s_cbranch_execnz .LBB60_41
.LBB60_40:
	s_mov_b32 s10, s4
.LBB60_41:
	s_cbranch_execnz .LBB60_43
.LBB60_42:
	s_mov_b32 s10, s18
.LBB60_43:
	s_mov_b32 s3, 0
.LBB60_44:
	s_delay_alu instid0(SALU_CYCLE_1)
	s_and_not1_b32 vcc_lo, exec_lo, s3
	s_cbranch_vccnz .LBB60_46
; %bb.45:
	s_add_i32 s10, s2, -8
.LBB60_46:
	s_load_b64 s[0:1], s[0:1], 0x0
	s_cmp_gt_u32 s10, 62
	s_cselect_b32 s2, -1, 0
	s_delay_alu instid0(SALU_CYCLE_1)
	v_cndmask_b32_e64 v1, 0, 1, s2
	s_waitcnt lgkmcnt(0)
	global_store_b8 v0, v1, s[0:1]
	s_nop 0
	s_sendmsg sendmsg(MSG_DEALLOC_VGPRS)
	s_endpgm
	.section	.rodata,"a",@progbits
	.p2align	6, 0x0
	.amdhsa_kernel _Z21device_test_warp_maskILj11EEvP10TestStatus
		.amdhsa_group_segment_fixed_size 0
		.amdhsa_private_segment_fixed_size 0
		.amdhsa_kernarg_size 8
		.amdhsa_user_sgpr_count 15
		.amdhsa_user_sgpr_dispatch_ptr 0
		.amdhsa_user_sgpr_queue_ptr 0
		.amdhsa_user_sgpr_kernarg_segment_ptr 1
		.amdhsa_user_sgpr_dispatch_id 0
		.amdhsa_user_sgpr_private_segment_size 0
		.amdhsa_wavefront_size32 1
		.amdhsa_uses_dynamic_stack 0
		.amdhsa_enable_private_segment 0
		.amdhsa_system_sgpr_workgroup_id_x 1
		.amdhsa_system_sgpr_workgroup_id_y 0
		.amdhsa_system_sgpr_workgroup_id_z 0
		.amdhsa_system_sgpr_workgroup_info 0
		.amdhsa_system_vgpr_workitem_id 0
		.amdhsa_next_free_vgpr 2
		.amdhsa_next_free_sgpr 29
		.amdhsa_reserve_vcc 1
		.amdhsa_float_round_mode_32 0
		.amdhsa_float_round_mode_16_64 0
		.amdhsa_float_denorm_mode_32 3
		.amdhsa_float_denorm_mode_16_64 3
		.amdhsa_dx10_clamp 1
		.amdhsa_ieee_mode 1
		.amdhsa_fp16_overflow 0
		.amdhsa_workgroup_processor_mode 1
		.amdhsa_memory_ordered 1
		.amdhsa_forward_progress 0
		.amdhsa_shared_vgpr_count 0
		.amdhsa_exception_fp_ieee_invalid_op 0
		.amdhsa_exception_fp_denorm_src 0
		.amdhsa_exception_fp_ieee_div_zero 0
		.amdhsa_exception_fp_ieee_overflow 0
		.amdhsa_exception_fp_ieee_underflow 0
		.amdhsa_exception_fp_ieee_inexact 0
		.amdhsa_exception_int_div_zero 0
	.end_amdhsa_kernel
	.section	.text._Z21device_test_warp_maskILj11EEvP10TestStatus,"axG",@progbits,_Z21device_test_warp_maskILj11EEvP10TestStatus,comdat
.Lfunc_end60:
	.size	_Z21device_test_warp_maskILj11EEvP10TestStatus, .Lfunc_end60-_Z21device_test_warp_maskILj11EEvP10TestStatus
                                        ; -- End function
	.section	.AMDGPU.csdata,"",@progbits
; Kernel info:
; codeLenInByte = 692
; NumSgprs: 31
; NumVgprs: 2
; ScratchSize: 0
; MemoryBound: 0
; FloatMode: 240
; IeeeMode: 1
; LDSByteSize: 0 bytes/workgroup (compile time only)
; SGPRBlocks: 3
; VGPRBlocks: 0
; NumSGPRsForWavesPerEU: 31
; NumVGPRsForWavesPerEU: 2
; Occupancy: 16
; WaveLimiterHint : 0
; COMPUTE_PGM_RSRC2:SCRATCH_EN: 0
; COMPUTE_PGM_RSRC2:USER_SGPR: 15
; COMPUTE_PGM_RSRC2:TRAP_HANDLER: 0
; COMPUTE_PGM_RSRC2:TGID_X_EN: 1
; COMPUTE_PGM_RSRC2:TGID_Y_EN: 0
; COMPUTE_PGM_RSRC2:TGID_Z_EN: 0
; COMPUTE_PGM_RSRC2:TIDIG_COMP_CNT: 0
	.section	.text._Z21device_test_warp_maskILj12EEvP10TestStatus,"axG",@progbits,_Z21device_test_warp_maskILj12EEvP10TestStatus,comdat
	.protected	_Z21device_test_warp_maskILj12EEvP10TestStatus ; -- Begin function _Z21device_test_warp_maskILj12EEvP10TestStatus
	.globl	_Z21device_test_warp_maskILj12EEvP10TestStatus
	.p2align	8
	.type	_Z21device_test_warp_maskILj12EEvP10TestStatus,@function
_Z21device_test_warp_maskILj12EEvP10TestStatus: ; @_Z21device_test_warp_maskILj12EEvP10TestStatus
; %bb.0:
	s_mov_b32 s13, 12
	s_mov_b64 s[10:11], 13
	s_mov_b32 s7, 0
	s_set_inst_prefetch_distance 0x1
	s_branch .LBB61_3
.LBB61_1:                               ;   in Loop: Header=BB61_3 Depth=1
	s_mov_b32 s17, 0
	.p2align	6
.LBB61_2:                               ;   in Loop: Header=BB61_3 Depth=1
	s_and_b32 vcc_lo, exec_lo, s6
	s_cbranch_vccnz .LBB61_8
.LBB61_3:                               ; =>This Inner Loop Header: Depth=1
	s_mov_b64 s[2:3], s[10:11]
	s_mov_b32 s14, -1
	s_lshl_b64 s[4:5], 1, s2
	s_mov_b32 s16, 0
	s_and_b32 s6, s4, 0x222
	s_mov_b32 s17, 0
	s_cmp_lg_u64 s[6:7], 0
	s_mov_b32 s15, 0
	s_mov_b32 s6, -1
                                        ; implicit-def: $sgpr10_sgpr11
                                        ; implicit-def: $sgpr12
                                        ; implicit-def: $sgpr4_sgpr5
                                        ; implicit-def: $sgpr8_sgpr9
	s_cbranch_scc1 .LBB61_2
; %bb.4:                                ;   in Loop: Header=BB61_3 Depth=1
	s_add_u32 s4, s2, 1
	s_mov_b32 s15, -1
	s_lshl_b64 s[8:9], 1, s4
	s_mov_b32 s14, 0
	s_and_b32 s6, s8, 0x444
                                        ; implicit-def: $sgpr10_sgpr11
                                        ; implicit-def: $sgpr12
                                        ; implicit-def: $sgpr8_sgpr9
	s_delay_alu instid0(SALU_CYCLE_1)
	s_cmp_eq_u64 s[6:7], 0
	s_mov_b32 s6, -1
	s_cbranch_scc0 .LBB61_2
; %bb.5:                                ;   in Loop: Header=BB61_3 Depth=1
	s_add_u32 s8, s2, 2
	s_mov_b32 s17, -1
	s_lshl_b64 s[10:11], 1, s8
	s_mov_b32 s15, 0
	s_and_b32 s6, s10, 0x888
                                        ; implicit-def: $sgpr10_sgpr11
                                        ; implicit-def: $sgpr12
	s_delay_alu instid0(SALU_CYCLE_1)
	s_cmp_eq_u64 s[6:7], 0
	s_mov_b32 s6, -1
	s_cbranch_scc0 .LBB61_2
; %bb.6:                                ;   in Loop: Header=BB61_3 Depth=1
	s_mov_b32 s16, -1
	s_cmp_lg_u32 s2, 61
                                        ; implicit-def: $sgpr10_sgpr11
                                        ; implicit-def: $sgpr12
	s_cbranch_scc0 .LBB61_1
; %bb.7:                                ;   in Loop: Header=BB61_3 Depth=1
	s_add_i32 s5, s2, 3
	s_or_b32 s12, s13, 3
	s_lshl_b64 s[10:11], 1, s5
	s_mov_b32 s16, 0
	s_and_b32 s6, s10, 0x110
	s_delay_alu instid0(SALU_CYCLE_1)
	s_cmp_lg_u64 s[6:7], 0
	s_cselect_b32 s6, -1, 0
	s_add_u32 s10, s2, 4
	s_addc_u32 s11, s3, 0
	s_add_i32 s13, s13, 4
	s_branch .LBB61_1
.LBB61_8:
	s_set_inst_prefetch_distance 0x2
	s_and_b32 vcc_lo, exec_lo, s14
	s_mov_b32 s3, -1
	s_cbranch_vccnz .LBB61_20
; %bb.9:
	s_xor_b32 s3, s15, -1
	s_delay_alu instid0(SALU_CYCLE_1)
	s_and_not1_b32 vcc_lo, exec_lo, s3
	s_cbranch_vccnz .LBB61_14
; %bb.10:
	s_xor_b32 s3, s17, -1
	s_delay_alu instid0(SALU_CYCLE_1)
	s_and_not1_b32 vcc_lo, exec_lo, s3
	s_cbranch_vccnz .LBB61_15
; %bb.11:
	s_and_b32 vcc_lo, exec_lo, s16
	s_cbranch_vccz .LBB61_13
; %bb.12:
	s_mov_b32 s12, s8
.LBB61_13:
	s_cbranch_execz .LBB61_16
	s_branch .LBB61_17
.LBB61_14:
                                        ; implicit-def: $sgpr12
	s_branch .LBB61_18
.LBB61_15:
                                        ; implicit-def: $sgpr12
.LBB61_16:
	s_mov_b32 s12, s4
.LBB61_17:
	s_cbranch_execnz .LBB61_19
.LBB61_18:
	s_mov_b32 s12, s2
.LBB61_19:
	s_mov_b32 s3, 0
.LBB61_20:
	s_delay_alu instid0(SALU_CYCLE_1)
	s_and_not1_b32 vcc_lo, exec_lo, s3
	s_cbranch_vccnz .LBB61_22
; %bb.21:
	s_add_i32 s12, s2, -1
.LBB61_22:
	s_load_b64 s[0:1], s[0:1], 0x0
	s_cmp_gt_u32 s12, 62
	s_cselect_b32 s2, -1, 0
	s_delay_alu instid0(SALU_CYCLE_1)
	v_cndmask_b32_e64 v1, 0, 1, s2
	s_waitcnt lgkmcnt(0)
	global_store_b8 v0, v1, s[0:1]
	s_nop 0
	s_sendmsg sendmsg(MSG_DEALLOC_VGPRS)
	s_endpgm
	.section	.rodata,"a",@progbits
	.p2align	6, 0x0
	.amdhsa_kernel _Z21device_test_warp_maskILj12EEvP10TestStatus
		.amdhsa_group_segment_fixed_size 0
		.amdhsa_private_segment_fixed_size 0
		.amdhsa_kernarg_size 8
		.amdhsa_user_sgpr_count 15
		.amdhsa_user_sgpr_dispatch_ptr 0
		.amdhsa_user_sgpr_queue_ptr 0
		.amdhsa_user_sgpr_kernarg_segment_ptr 1
		.amdhsa_user_sgpr_dispatch_id 0
		.amdhsa_user_sgpr_private_segment_size 0
		.amdhsa_wavefront_size32 1
		.amdhsa_uses_dynamic_stack 0
		.amdhsa_enable_private_segment 0
		.amdhsa_system_sgpr_workgroup_id_x 1
		.amdhsa_system_sgpr_workgroup_id_y 0
		.amdhsa_system_sgpr_workgroup_id_z 0
		.amdhsa_system_sgpr_workgroup_info 0
		.amdhsa_system_vgpr_workitem_id 0
		.amdhsa_next_free_vgpr 2
		.amdhsa_next_free_sgpr 18
		.amdhsa_reserve_vcc 1
		.amdhsa_float_round_mode_32 0
		.amdhsa_float_round_mode_16_64 0
		.amdhsa_float_denorm_mode_32 3
		.amdhsa_float_denorm_mode_16_64 3
		.amdhsa_dx10_clamp 1
		.amdhsa_ieee_mode 1
		.amdhsa_fp16_overflow 0
		.amdhsa_workgroup_processor_mode 1
		.amdhsa_memory_ordered 1
		.amdhsa_forward_progress 0
		.amdhsa_shared_vgpr_count 0
		.amdhsa_exception_fp_ieee_invalid_op 0
		.amdhsa_exception_fp_denorm_src 0
		.amdhsa_exception_fp_ieee_div_zero 0
		.amdhsa_exception_fp_ieee_overflow 0
		.amdhsa_exception_fp_ieee_underflow 0
		.amdhsa_exception_fp_ieee_inexact 0
		.amdhsa_exception_int_div_zero 0
	.end_amdhsa_kernel
	.section	.text._Z21device_test_warp_maskILj12EEvP10TestStatus,"axG",@progbits,_Z21device_test_warp_maskILj12EEvP10TestStatus,comdat
.Lfunc_end61:
	.size	_Z21device_test_warp_maskILj12EEvP10TestStatus, .Lfunc_end61-_Z21device_test_warp_maskILj12EEvP10TestStatus
                                        ; -- End function
	.section	.AMDGPU.csdata,"",@progbits
; Kernel info:
; codeLenInByte = 376
; NumSgprs: 20
; NumVgprs: 2
; ScratchSize: 0
; MemoryBound: 0
; FloatMode: 240
; IeeeMode: 1
; LDSByteSize: 0 bytes/workgroup (compile time only)
; SGPRBlocks: 2
; VGPRBlocks: 0
; NumSGPRsForWavesPerEU: 20
; NumVGPRsForWavesPerEU: 2
; Occupancy: 16
; WaveLimiterHint : 0
; COMPUTE_PGM_RSRC2:SCRATCH_EN: 0
; COMPUTE_PGM_RSRC2:USER_SGPR: 15
; COMPUTE_PGM_RSRC2:TRAP_HANDLER: 0
; COMPUTE_PGM_RSRC2:TGID_X_EN: 1
; COMPUTE_PGM_RSRC2:TGID_Y_EN: 0
; COMPUTE_PGM_RSRC2:TGID_Z_EN: 0
; COMPUTE_PGM_RSRC2:TIDIG_COMP_CNT: 0
	.section	.text._Z21device_test_warp_maskILj13EEvP10TestStatus,"axG",@progbits,_Z21device_test_warp_maskILj13EEvP10TestStatus,comdat
	.protected	_Z21device_test_warp_maskILj13EEvP10TestStatus ; -- Begin function _Z21device_test_warp_maskILj13EEvP10TestStatus
	.globl	_Z21device_test_warp_maskILj13EEvP10TestStatus
	.p2align	8
	.type	_Z21device_test_warp_maskILj13EEvP10TestStatus,@function
_Z21device_test_warp_maskILj13EEvP10TestStatus: ; @_Z21device_test_warp_maskILj13EEvP10TestStatus
; %bb.0:
	s_mov_b32 s12, 13
	s_mov_b64 s[8:9], 16
	s_mov_b32 s5, 0
	s_set_inst_prefetch_distance 0x1
	s_branch .LBB62_3
.LBB62_1:                               ;   in Loop: Header=BB62_3 Depth=1
	s_mov_b32 s15, 0
	.p2align	6
.LBB62_2:                               ;   in Loop: Header=BB62_3 Depth=1
	s_and_b32 vcc_lo, exec_lo, s4
	s_cbranch_vccnz .LBB62_7
.LBB62_3:                               ; =>This Inner Loop Header: Depth=1
	s_mov_b64 s[2:3], s[8:9]
	s_mov_b32 s13, -1
	s_add_u32 s10, s2, -2
	s_mov_b32 s14, 0
	s_lshl_b64 s[6:7], 1, s10
	s_mov_b32 s15, 0
	s_and_b32 s4, s6, 0x1ffe
                                        ; implicit-def: $sgpr8_sgpr9
                                        ; implicit-def: $sgpr11
                                        ; implicit-def: $sgpr6_sgpr7
	s_delay_alu instid0(SALU_CYCLE_1)
	s_cmp_lg_u64 s[4:5], 0
	s_mov_b32 s4, -1
	s_cbranch_scc1 .LBB62_2
; %bb.4:                                ;   in Loop: Header=BB62_3 Depth=1
	s_add_u32 s6, s2, -1
	s_mov_b32 s15, -1
	s_lshl_b64 s[8:9], 1, s6
	s_mov_b32 s13, 0
	s_and_b32 s4, s8, 0x1ffe
                                        ; implicit-def: $sgpr8_sgpr9
                                        ; implicit-def: $sgpr11
	s_delay_alu instid0(SALU_CYCLE_1)
	s_cmp_eq_u64 s[4:5], 0
	s_mov_b32 s4, -1
	s_cbranch_scc0 .LBB62_2
; %bb.5:                                ;   in Loop: Header=BB62_3 Depth=1
	s_mov_b32 s14, -1
	s_cmp_lg_u32 s2, 64
                                        ; implicit-def: $sgpr8_sgpr9
                                        ; implicit-def: $sgpr11
	s_cbranch_scc0 .LBB62_1
; %bb.6:                                ;   in Loop: Header=BB62_3 Depth=1
	s_lshl_b64 s[8:9], 1, s2
	s_add_i32 s11, s12, 2
	s_and_b32 s4, s8, 0x1ffe
	s_mov_b32 s14, 0
	s_cmp_lg_u64 s[4:5], 0
	s_cselect_b32 s4, -1, 0
	s_add_u32 s8, s2, 3
	s_addc_u32 s9, s3, 0
	s_add_i32 s12, s12, 3
	s_branch .LBB62_1
.LBB62_7:
	s_set_inst_prefetch_distance 0x2
	s_and_b32 vcc_lo, exec_lo, s13
	s_mov_b32 s3, -1
	s_cbranch_vccnz .LBB62_15
; %bb.8:
	s_xor_b32 s3, s15, -1
	s_delay_alu instid0(SALU_CYCLE_1)
	s_and_not1_b32 vcc_lo, exec_lo, s3
	s_cbranch_vccnz .LBB62_12
; %bb.9:
	s_and_b32 vcc_lo, exec_lo, s14
	s_cbranch_vccz .LBB62_11
; %bb.10:
	s_mov_b32 s11, s6
.LBB62_11:
	s_cbranch_execz .LBB62_13
	s_branch .LBB62_14
.LBB62_12:
                                        ; implicit-def: $sgpr11
.LBB62_13:
	s_mov_b32 s11, s10
.LBB62_14:
	s_mov_b32 s3, 0
.LBB62_15:
	s_delay_alu instid0(SALU_CYCLE_1)
	s_and_not1_b32 vcc_lo, exec_lo, s3
	s_cbranch_vccnz .LBB62_17
; %bb.16:
	s_add_i32 s11, s2, -3
.LBB62_17:
	s_load_b64 s[0:1], s[0:1], 0x0
	s_cmp_gt_u32 s11, 62
	s_cselect_b32 s2, -1, 0
	s_delay_alu instid0(SALU_CYCLE_1)
	v_cndmask_b32_e64 v1, 0, 1, s2
	s_waitcnt lgkmcnt(0)
	global_store_b8 v0, v1, s[0:1]
	s_nop 0
	s_sendmsg sendmsg(MSG_DEALLOC_VGPRS)
	s_endpgm
	.section	.rodata,"a",@progbits
	.p2align	6, 0x0
	.amdhsa_kernel _Z21device_test_warp_maskILj13EEvP10TestStatus
		.amdhsa_group_segment_fixed_size 0
		.amdhsa_private_segment_fixed_size 0
		.amdhsa_kernarg_size 8
		.amdhsa_user_sgpr_count 15
		.amdhsa_user_sgpr_dispatch_ptr 0
		.amdhsa_user_sgpr_queue_ptr 0
		.amdhsa_user_sgpr_kernarg_segment_ptr 1
		.amdhsa_user_sgpr_dispatch_id 0
		.amdhsa_user_sgpr_private_segment_size 0
		.amdhsa_wavefront_size32 1
		.amdhsa_uses_dynamic_stack 0
		.amdhsa_enable_private_segment 0
		.amdhsa_system_sgpr_workgroup_id_x 1
		.amdhsa_system_sgpr_workgroup_id_y 0
		.amdhsa_system_sgpr_workgroup_id_z 0
		.amdhsa_system_sgpr_workgroup_info 0
		.amdhsa_system_vgpr_workitem_id 0
		.amdhsa_next_free_vgpr 2
		.amdhsa_next_free_sgpr 16
		.amdhsa_reserve_vcc 1
		.amdhsa_float_round_mode_32 0
		.amdhsa_float_round_mode_16_64 0
		.amdhsa_float_denorm_mode_32 3
		.amdhsa_float_denorm_mode_16_64 3
		.amdhsa_dx10_clamp 1
		.amdhsa_ieee_mode 1
		.amdhsa_fp16_overflow 0
		.amdhsa_workgroup_processor_mode 1
		.amdhsa_memory_ordered 1
		.amdhsa_forward_progress 0
		.amdhsa_shared_vgpr_count 0
		.amdhsa_exception_fp_ieee_invalid_op 0
		.amdhsa_exception_fp_denorm_src 0
		.amdhsa_exception_fp_ieee_div_zero 0
		.amdhsa_exception_fp_ieee_overflow 0
		.amdhsa_exception_fp_ieee_underflow 0
		.amdhsa_exception_fp_ieee_inexact 0
		.amdhsa_exception_int_div_zero 0
	.end_amdhsa_kernel
	.section	.text._Z21device_test_warp_maskILj13EEvP10TestStatus,"axG",@progbits,_Z21device_test_warp_maskILj13EEvP10TestStatus,comdat
.Lfunc_end62:
	.size	_Z21device_test_warp_maskILj13EEvP10TestStatus, .Lfunc_end62-_Z21device_test_warp_maskILj13EEvP10TestStatus
                                        ; -- End function
	.section	.AMDGPU.csdata,"",@progbits
; Kernel info:
; codeLenInByte = 304
; NumSgprs: 18
; NumVgprs: 2
; ScratchSize: 0
; MemoryBound: 0
; FloatMode: 240
; IeeeMode: 1
; LDSByteSize: 0 bytes/workgroup (compile time only)
; SGPRBlocks: 2
; VGPRBlocks: 0
; NumSGPRsForWavesPerEU: 18
; NumVGPRsForWavesPerEU: 2
; Occupancy: 16
; WaveLimiterHint : 0
; COMPUTE_PGM_RSRC2:SCRATCH_EN: 0
; COMPUTE_PGM_RSRC2:USER_SGPR: 15
; COMPUTE_PGM_RSRC2:TRAP_HANDLER: 0
; COMPUTE_PGM_RSRC2:TGID_X_EN: 1
; COMPUTE_PGM_RSRC2:TGID_Y_EN: 0
; COMPUTE_PGM_RSRC2:TGID_Z_EN: 0
; COMPUTE_PGM_RSRC2:TIDIG_COMP_CNT: 0
	.section	.text._Z21device_test_warp_maskILj14EEvP10TestStatus,"axG",@progbits,_Z21device_test_warp_maskILj14EEvP10TestStatus,comdat
	.protected	_Z21device_test_warp_maskILj14EEvP10TestStatus ; -- Begin function _Z21device_test_warp_maskILj14EEvP10TestStatus
	.globl	_Z21device_test_warp_maskILj14EEvP10TestStatus
	.p2align	8
	.type	_Z21device_test_warp_maskILj14EEvP10TestStatus,@function
_Z21device_test_warp_maskILj14EEvP10TestStatus: ; @_Z21device_test_warp_maskILj14EEvP10TestStatus
; %bb.0:
	s_mov_b32 s24, 14
	s_mov_b64 s[22:23], 15
	s_mov_b32 s13, 0
	s_branch .LBB63_4
.LBB63_1:                               ;   in Loop: Header=BB63_4 Depth=1
	s_add_i32 s5, s2, 9
	s_delay_alu instid0(SALU_CYCLE_1) | instskip(NEXT) | instid1(SALU_CYCLE_1)
	s_lshl_b64 s[22:23], 1, s5
	s_and_b32 s12, s22, 0x1554
	s_delay_alu instid0(SALU_CYCLE_1)
	s_cmp_lg_u64 s[12:13], 0
                                        ; implicit-def: $sgpr12
	s_cselect_b32 s36, -1, 0
	s_add_u32 s22, s2, 10
	s_addc_u32 s23, s3, 0
	s_add_i32 s24, s24, 10
.LBB63_2:                               ;   in Loop: Header=BB63_4 Depth=1
	s_mov_b32 s35, 0
.LBB63_3:                               ;   in Loop: Header=BB63_4 Depth=1
	s_and_b32 vcc_lo, exec_lo, s36
	s_cbranch_vccnz .LBB63_15
.LBB63_4:                               ; =>This Inner Loop Header: Depth=1
	s_mov_b64 s[2:3], s[22:23]
	s_mov_b32 s25, -1
	s_lshl_b64 s[4:5], 1, s2
	s_mov_b32 s33, 0
	s_and_b32 s12, s4, 0x2aaa
	s_mov_b32 s35, 0
	s_cmp_lg_u64 s[12:13], 0
	s_mov_b32 s34, 0
	s_mov_b32 s31, 0
	;; [unrolled: 1-line block ×7, first 2 shown]
	s_mov_b32 s36, -1
                                        ; implicit-def: $sgpr22_sgpr23
                                        ; implicit-def: $sgpr12
                                        ; implicit-def: $sgpr4_sgpr5
                                        ; implicit-def: $sgpr6_sgpr7
                                        ; implicit-def: $sgpr8_sgpr9
                                        ; implicit-def: $sgpr10_sgpr11
                                        ; implicit-def: $sgpr14_sgpr15
                                        ; implicit-def: $sgpr16_sgpr17
                                        ; implicit-def: $sgpr18_sgpr19
                                        ; implicit-def: $sgpr20_sgpr21
	s_cbranch_scc1 .LBB63_3
; %bb.5:                                ;   in Loop: Header=BB63_4 Depth=1
	s_add_u32 s4, s2, 1
	s_mov_b32 s26, -1
	s_lshl_b64 s[6:7], 1, s4
	s_mov_b32 s25, 0
	s_and_b32 s12, s6, 0x1554
                                        ; implicit-def: $sgpr22_sgpr23
                                        ; implicit-def: $sgpr6_sgpr7
                                        ; implicit-def: $sgpr8_sgpr9
                                        ; implicit-def: $sgpr10_sgpr11
                                        ; implicit-def: $sgpr14_sgpr15
                                        ; implicit-def: $sgpr16_sgpr17
                                        ; implicit-def: $sgpr18_sgpr19
                                        ; implicit-def: $sgpr20_sgpr21
	s_delay_alu instid0(SALU_CYCLE_1)
	s_cmp_eq_u64 s[12:13], 0
                                        ; implicit-def: $sgpr12
	s_cbranch_scc0 .LBB63_3
; %bb.6:                                ;   in Loop: Header=BB63_4 Depth=1
	s_add_u32 s6, s2, 2
	s_mov_b32 s27, -1
	s_lshl_b64 s[8:9], 1, s6
	s_mov_b32 s26, 0
	s_and_b32 s12, s8, 0x2aaa
                                        ; implicit-def: $sgpr22_sgpr23
                                        ; implicit-def: $sgpr8_sgpr9
                                        ; implicit-def: $sgpr10_sgpr11
                                        ; implicit-def: $sgpr14_sgpr15
                                        ; implicit-def: $sgpr16_sgpr17
                                        ; implicit-def: $sgpr18_sgpr19
                                        ; implicit-def: $sgpr20_sgpr21
	s_delay_alu instid0(SALU_CYCLE_1)
	s_cmp_eq_u64 s[12:13], 0
                                        ; implicit-def: $sgpr12
	s_cbranch_scc0 .LBB63_3
; %bb.7:                                ;   in Loop: Header=BB63_4 Depth=1
	s_add_u32 s8, s2, 3
	s_mov_b32 s28, -1
	s_lshl_b64 s[10:11], 1, s8
	s_mov_b32 s27, 0
	s_and_b32 s12, s10, 0x1554
                                        ; implicit-def: $sgpr22_sgpr23
                                        ; implicit-def: $sgpr10_sgpr11
                                        ; implicit-def: $sgpr14_sgpr15
                                        ; implicit-def: $sgpr16_sgpr17
                                        ; implicit-def: $sgpr18_sgpr19
                                        ; implicit-def: $sgpr20_sgpr21
	s_delay_alu instid0(SALU_CYCLE_1)
	s_cmp_eq_u64 s[12:13], 0
                                        ; implicit-def: $sgpr12
	s_cbranch_scc0 .LBB63_3
; %bb.8:                                ;   in Loop: Header=BB63_4 Depth=1
	s_add_u32 s10, s2, 4
	s_mov_b32 s29, -1
	s_lshl_b64 s[14:15], 1, s10
	s_mov_b32 s28, 0
	s_and_b32 s12, s14, 0x2aaa
                                        ; implicit-def: $sgpr22_sgpr23
                                        ; implicit-def: $sgpr14_sgpr15
                                        ; implicit-def: $sgpr16_sgpr17
                                        ; implicit-def: $sgpr18_sgpr19
                                        ; implicit-def: $sgpr20_sgpr21
	s_delay_alu instid0(SALU_CYCLE_1)
	s_cmp_eq_u64 s[12:13], 0
                                        ; implicit-def: $sgpr12
	s_cbranch_scc0 .LBB63_3
; %bb.9:                                ;   in Loop: Header=BB63_4 Depth=1
	s_add_u32 s14, s2, 5
	s_mov_b32 s30, -1
	s_lshl_b64 s[16:17], 1, s14
	s_mov_b32 s29, 0
	s_and_b32 s12, s16, 0x1554
                                        ; implicit-def: $sgpr22_sgpr23
                                        ; implicit-def: $sgpr16_sgpr17
                                        ; implicit-def: $sgpr18_sgpr19
                                        ; implicit-def: $sgpr20_sgpr21
	s_delay_alu instid0(SALU_CYCLE_1)
	s_cmp_eq_u64 s[12:13], 0
                                        ; implicit-def: $sgpr12
	s_cbranch_scc0 .LBB63_3
; %bb.10:                               ;   in Loop: Header=BB63_4 Depth=1
	s_add_u32 s16, s2, 6
	s_mov_b32 s31, -1
	s_lshl_b64 s[18:19], 1, s16
	s_mov_b32 s30, 0
	s_and_b32 s12, s18, 0x2aaa
                                        ; implicit-def: $sgpr22_sgpr23
                                        ; implicit-def: $sgpr18_sgpr19
                                        ; implicit-def: $sgpr20_sgpr21
	s_delay_alu instid0(SALU_CYCLE_1)
	s_cmp_eq_u64 s[12:13], 0
                                        ; implicit-def: $sgpr12
	s_cbranch_scc0 .LBB63_3
; %bb.11:                               ;   in Loop: Header=BB63_4 Depth=1
	s_add_u32 s18, s2, 7
	s_mov_b32 s34, -1
	s_lshl_b64 s[20:21], 1, s18
	s_mov_b32 s31, 0
	s_and_b32 s12, s20, 0x1554
                                        ; implicit-def: $sgpr22_sgpr23
                                        ; implicit-def: $sgpr20_sgpr21
	s_delay_alu instid0(SALU_CYCLE_1)
	s_cmp_eq_u64 s[12:13], 0
                                        ; implicit-def: $sgpr12
	s_cbranch_scc0 .LBB63_3
; %bb.12:                               ;   in Loop: Header=BB63_4 Depth=1
	s_add_u32 s20, s2, 8
	s_mov_b32 s35, -1
	s_lshl_b64 s[22:23], 1, s20
	s_mov_b32 s34, 0
	s_and_b32 s12, s22, 0x2aaa
                                        ; implicit-def: $sgpr22_sgpr23
	s_delay_alu instid0(SALU_CYCLE_1)
	s_cmp_eq_u64 s[12:13], 0
                                        ; implicit-def: $sgpr12
	s_cbranch_scc0 .LBB63_3
; %bb.13:                               ;   in Loop: Header=BB63_4 Depth=1
	s_cmp_lg_u32 s2, 55
	s_cbranch_scc1 .LBB63_1
; %bb.14:                               ;   in Loop: Header=BB63_4 Depth=1
	s_add_i32 s12, s24, 9
	s_mov_b32 s33, -1
                                        ; implicit-def: $sgpr24
                                        ; implicit-def: $sgpr22_sgpr23
	s_branch .LBB63_2
.LBB63_15:
	s_and_b32 vcc_lo, exec_lo, s25
	s_mov_b32 s3, -1
	s_cbranch_vccnz .LBB63_56
; %bb.16:
	s_xor_b32 s3, s26, -1
	s_delay_alu instid0(SALU_CYCLE_1)
	s_and_not1_b32 vcc_lo, exec_lo, s3
	s_cbranch_vccnz .LBB63_27
; %bb.17:
	s_xor_b32 s3, s27, -1
	s_delay_alu instid0(SALU_CYCLE_1)
	s_and_not1_b32 vcc_lo, exec_lo, s3
	;; [unrolled: 5-line block ×8, first 2 shown]
	s_cbranch_vccnz .LBB63_34
; %bb.24:
	s_xor_b32 s3, s33, -1
	s_delay_alu instid0(SALU_CYCLE_1)
	s_and_b32 vcc_lo, exec_lo, s3
	s_cbranch_vccz .LBB63_26
; %bb.25:
	s_mov_b32 s12, s20
.LBB63_26:
	s_mov_b32 s3, 0
	s_branch .LBB63_35
.LBB63_27:
                                        ; implicit-def: $sgpr12
	s_branch .LBB63_54
.LBB63_28:
                                        ; implicit-def: $sgpr12
	s_branch .LBB63_52
.LBB63_29:
                                        ; implicit-def: $sgpr12
	s_branch .LBB63_50
.LBB63_30:
	s_mov_b32 s3, -1
                                        ; implicit-def: $sgpr12
	s_branch .LBB63_47
.LBB63_31:
	s_mov_b32 s3, -1
                                        ; implicit-def: $sgpr12
	s_branch .LBB63_44
.LBB63_32:
	s_mov_b32 s3, -1
                                        ; implicit-def: $sgpr12
	s_branch .LBB63_41
.LBB63_33:
	s_mov_b32 s3, -1
                                        ; implicit-def: $sgpr12
	s_branch .LBB63_38
.LBB63_34:
	s_mov_b32 s3, -1
                                        ; implicit-def: $sgpr12
.LBB63_35:
	s_delay_alu instid0(SALU_CYCLE_1)
	s_and_not1_b32 vcc_lo, exec_lo, s3
	s_cbranch_vccnz .LBB63_37
; %bb.36:
	s_mov_b32 s12, s18
.LBB63_37:
	s_mov_b32 s3, 0
.LBB63_38:
	s_delay_alu instid0(SALU_CYCLE_1)
	s_and_not1_b32 vcc_lo, exec_lo, s3
	s_cbranch_vccnz .LBB63_40
; %bb.39:
	s_mov_b32 s12, s16
.LBB63_40:
	s_mov_b32 s3, 0
.LBB63_41:
	s_delay_alu instid0(SALU_CYCLE_1)
	s_and_not1_b32 vcc_lo, exec_lo, s3
	s_cbranch_vccnz .LBB63_43
; %bb.42:
	s_mov_b32 s12, s14
.LBB63_43:
	s_mov_b32 s3, 0
.LBB63_44:
	s_delay_alu instid0(SALU_CYCLE_1)
	s_and_not1_b32 vcc_lo, exec_lo, s3
	s_cbranch_vccnz .LBB63_46
; %bb.45:
	s_mov_b32 s12, s10
.LBB63_46:
	s_mov_b32 s3, 0
.LBB63_47:
	s_delay_alu instid0(SALU_CYCLE_1)
	s_and_not1_b32 vcc_lo, exec_lo, s3
	s_cbranch_vccnz .LBB63_49
; %bb.48:
	s_mov_b32 s12, s8
.LBB63_49:
	s_cbranch_execnz .LBB63_51
.LBB63_50:
	s_mov_b32 s12, s6
.LBB63_51:
	s_cbranch_execnz .LBB63_53
.LBB63_52:
	s_mov_b32 s12, s4
.LBB63_53:
	s_cbranch_execnz .LBB63_55
.LBB63_54:
	s_mov_b32 s12, s2
.LBB63_55:
	s_mov_b32 s3, 0
.LBB63_56:
	s_delay_alu instid0(SALU_CYCLE_1)
	s_and_not1_b32 vcc_lo, exec_lo, s3
	s_cbranch_vccnz .LBB63_58
; %bb.57:
	s_add_i32 s12, s2, -1
.LBB63_58:
	s_load_b64 s[0:1], s[0:1], 0x0
	s_cmp_gt_u32 s12, 62
	s_cselect_b32 s2, -1, 0
	s_delay_alu instid0(SALU_CYCLE_1)
	v_cndmask_b32_e64 v1, 0, 1, s2
	s_waitcnt lgkmcnt(0)
	global_store_b8 v0, v1, s[0:1]
	s_nop 0
	s_sendmsg sendmsg(MSG_DEALLOC_VGPRS)
	s_endpgm
	.section	.rodata,"a",@progbits
	.p2align	6, 0x0
	.amdhsa_kernel _Z21device_test_warp_maskILj14EEvP10TestStatus
		.amdhsa_group_segment_fixed_size 0
		.amdhsa_private_segment_fixed_size 0
		.amdhsa_kernarg_size 8
		.amdhsa_user_sgpr_count 15
		.amdhsa_user_sgpr_dispatch_ptr 0
		.amdhsa_user_sgpr_queue_ptr 0
		.amdhsa_user_sgpr_kernarg_segment_ptr 1
		.amdhsa_user_sgpr_dispatch_id 0
		.amdhsa_user_sgpr_private_segment_size 0
		.amdhsa_wavefront_size32 1
		.amdhsa_uses_dynamic_stack 0
		.amdhsa_enable_private_segment 0
		.amdhsa_system_sgpr_workgroup_id_x 1
		.amdhsa_system_sgpr_workgroup_id_y 0
		.amdhsa_system_sgpr_workgroup_id_z 0
		.amdhsa_system_sgpr_workgroup_info 0
		.amdhsa_system_vgpr_workitem_id 0
		.amdhsa_next_free_vgpr 2
		.amdhsa_next_free_sgpr 37
		.amdhsa_reserve_vcc 1
		.amdhsa_float_round_mode_32 0
		.amdhsa_float_round_mode_16_64 0
		.amdhsa_float_denorm_mode_32 3
		.amdhsa_float_denorm_mode_16_64 3
		.amdhsa_dx10_clamp 1
		.amdhsa_ieee_mode 1
		.amdhsa_fp16_overflow 0
		.amdhsa_workgroup_processor_mode 1
		.amdhsa_memory_ordered 1
		.amdhsa_forward_progress 0
		.amdhsa_shared_vgpr_count 0
		.amdhsa_exception_fp_ieee_invalid_op 0
		.amdhsa_exception_fp_denorm_src 0
		.amdhsa_exception_fp_ieee_div_zero 0
		.amdhsa_exception_fp_ieee_overflow 0
		.amdhsa_exception_fp_ieee_underflow 0
		.amdhsa_exception_fp_ieee_inexact 0
		.amdhsa_exception_int_div_zero 0
	.end_amdhsa_kernel
	.section	.text._Z21device_test_warp_maskILj14EEvP10TestStatus,"axG",@progbits,_Z21device_test_warp_maskILj14EEvP10TestStatus,comdat
.Lfunc_end63:
	.size	_Z21device_test_warp_maskILj14EEvP10TestStatus, .Lfunc_end63-_Z21device_test_warp_maskILj14EEvP10TestStatus
                                        ; -- End function
	.section	.AMDGPU.csdata,"",@progbits
; Kernel info:
; codeLenInByte = 856
; NumSgprs: 39
; NumVgprs: 2
; ScratchSize: 0
; MemoryBound: 0
; FloatMode: 240
; IeeeMode: 1
; LDSByteSize: 0 bytes/workgroup (compile time only)
; SGPRBlocks: 4
; VGPRBlocks: 0
; NumSGPRsForWavesPerEU: 39
; NumVGPRsForWavesPerEU: 2
; Occupancy: 16
; WaveLimiterHint : 0
; COMPUTE_PGM_RSRC2:SCRATCH_EN: 0
; COMPUTE_PGM_RSRC2:USER_SGPR: 15
; COMPUTE_PGM_RSRC2:TRAP_HANDLER: 0
; COMPUTE_PGM_RSRC2:TGID_X_EN: 1
; COMPUTE_PGM_RSRC2:TGID_Y_EN: 0
; COMPUTE_PGM_RSRC2:TGID_Z_EN: 0
; COMPUTE_PGM_RSRC2:TIDIG_COMP_CNT: 0
	.section	.text._Z21device_test_warp_maskILj15EEvP10TestStatus,"axG",@progbits,_Z21device_test_warp_maskILj15EEvP10TestStatus,comdat
	.protected	_Z21device_test_warp_maskILj15EEvP10TestStatus ; -- Begin function _Z21device_test_warp_maskILj15EEvP10TestStatus
	.globl	_Z21device_test_warp_maskILj15EEvP10TestStatus
	.p2align	8
	.type	_Z21device_test_warp_maskILj15EEvP10TestStatus,@function
_Z21device_test_warp_maskILj15EEvP10TestStatus: ; @_Z21device_test_warp_maskILj15EEvP10TestStatus
; %bb.0:
	s_mov_b32 s19, 15
	s_mov_b64 s[16:17], 22
	s_mov_b32 s9, 0
	s_branch .LBB64_3
.LBB64_1:                               ;   in Loop: Header=BB64_3 Depth=1
	s_mov_b32 s27, 0
.LBB64_2:                               ;   in Loop: Header=BB64_3 Depth=1
	s_and_b32 vcc_lo, exec_lo, s8
	s_cbranch_vccnz .LBB64_11
.LBB64_3:                               ; =>This Inner Loop Header: Depth=1
	s_mov_b64 s[2:3], s[16:17]
	s_mov_b32 s21, -1
	s_add_u32 s18, s2, -6
	s_mov_b32 s26, 0
	s_lshl_b64 s[4:5], 1, s18
	s_mov_b32 s27, 0
	s_and_b32 s8, s4, 0x7ffe
	s_mov_b32 s25, 0
	s_cmp_lg_u64 s[8:9], 0
	s_mov_b32 s24, 0
	s_mov_b32 s23, 0
	;; [unrolled: 1-line block ×3, first 2 shown]
	s_mov_b32 s8, -1
                                        ; implicit-def: $sgpr16_sgpr17
                                        ; implicit-def: $sgpr20
                                        ; implicit-def: $sgpr4_sgpr5
                                        ; implicit-def: $sgpr6_sgpr7
                                        ; implicit-def: $sgpr10_sgpr11
                                        ; implicit-def: $sgpr12_sgpr13
                                        ; implicit-def: $sgpr14_sgpr15
	s_cbranch_scc1 .LBB64_2
; %bb.4:                                ;   in Loop: Header=BB64_3 Depth=1
	s_add_u32 s4, s2, -5
	s_mov_b32 s22, -1
	s_lshl_b64 s[6:7], 1, s4
	s_mov_b32 s21, 0
	s_and_b32 s8, s6, 0x7ffe
                                        ; implicit-def: $sgpr16_sgpr17
                                        ; implicit-def: $sgpr20
                                        ; implicit-def: $sgpr6_sgpr7
                                        ; implicit-def: $sgpr10_sgpr11
                                        ; implicit-def: $sgpr12_sgpr13
                                        ; implicit-def: $sgpr14_sgpr15
	s_delay_alu instid0(SALU_CYCLE_1)
	s_cmp_eq_u64 s[8:9], 0
	s_mov_b32 s8, -1
	s_cbranch_scc0 .LBB64_2
; %bb.5:                                ;   in Loop: Header=BB64_3 Depth=1
	s_add_u32 s6, s2, -4
	s_mov_b32 s23, -1
	s_lshl_b64 s[10:11], 1, s6
	s_mov_b32 s22, 0
	s_and_b32 s8, s10, 0x7ffe
                                        ; implicit-def: $sgpr16_sgpr17
                                        ; implicit-def: $sgpr20
                                        ; implicit-def: $sgpr10_sgpr11
                                        ; implicit-def: $sgpr12_sgpr13
                                        ; implicit-def: $sgpr14_sgpr15
	s_delay_alu instid0(SALU_CYCLE_1)
	s_cmp_eq_u64 s[8:9], 0
	s_mov_b32 s8, -1
	s_cbranch_scc0 .LBB64_2
; %bb.6:                                ;   in Loop: Header=BB64_3 Depth=1
	s_add_u32 s10, s2, -3
	s_mov_b32 s24, -1
	s_lshl_b64 s[12:13], 1, s10
	s_mov_b32 s23, 0
	s_and_b32 s8, s12, 0x7ffe
                                        ; implicit-def: $sgpr16_sgpr17
                                        ; implicit-def: $sgpr20
                                        ; implicit-def: $sgpr12_sgpr13
                                        ; implicit-def: $sgpr14_sgpr15
	s_delay_alu instid0(SALU_CYCLE_1)
	s_cmp_eq_u64 s[8:9], 0
	s_mov_b32 s8, -1
	s_cbranch_scc0 .LBB64_2
; %bb.7:                                ;   in Loop: Header=BB64_3 Depth=1
	s_add_u32 s12, s2, -2
	s_mov_b32 s25, -1
	s_lshl_b64 s[14:15], 1, s12
	s_mov_b32 s24, 0
	s_and_b32 s8, s14, 0x7ffe
                                        ; implicit-def: $sgpr16_sgpr17
                                        ; implicit-def: $sgpr20
                                        ; implicit-def: $sgpr14_sgpr15
	s_delay_alu instid0(SALU_CYCLE_1)
	s_cmp_eq_u64 s[8:9], 0
	s_mov_b32 s8, -1
	s_cbranch_scc0 .LBB64_2
; %bb.8:                                ;   in Loop: Header=BB64_3 Depth=1
	s_add_u32 s14, s2, -1
	s_mov_b32 s27, -1
	s_lshl_b64 s[16:17], 1, s14
	s_mov_b32 s25, 0
	s_and_b32 s8, s16, 0x7ffe
                                        ; implicit-def: $sgpr16_sgpr17
                                        ; implicit-def: $sgpr20
	s_delay_alu instid0(SALU_CYCLE_1)
	s_cmp_eq_u64 s[8:9], 0
	s_mov_b32 s8, -1
	s_cbranch_scc0 .LBB64_2
; %bb.9:                                ;   in Loop: Header=BB64_3 Depth=1
	s_mov_b32 s26, -1
	s_cmp_lg_u32 s2, 64
                                        ; implicit-def: $sgpr16_sgpr17
                                        ; implicit-def: $sgpr20
	s_cbranch_scc0 .LBB64_1
; %bb.10:                               ;   in Loop: Header=BB64_3 Depth=1
	s_lshl_b64 s[16:17], 1, s2
	s_add_i32 s20, s19, 6
	s_and_b32 s8, s16, 0x7ffe
	s_mov_b32 s26, 0
	s_cmp_lg_u64 s[8:9], 0
	s_cselect_b32 s8, -1, 0
	s_add_u32 s16, s2, 7
	s_addc_u32 s17, s3, 0
	s_add_i32 s19, s19, 7
	s_branch .LBB64_1
.LBB64_11:
	s_and_b32 vcc_lo, exec_lo, s21
	s_mov_b32 s3, -1
	s_cbranch_vccnz .LBB64_37
; %bb.12:
	s_xor_b32 s3, s22, -1
	s_delay_alu instid0(SALU_CYCLE_1)
	s_and_not1_b32 vcc_lo, exec_lo, s3
	s_cbranch_vccnz .LBB64_20
; %bb.13:
	s_xor_b32 s3, s23, -1
	s_delay_alu instid0(SALU_CYCLE_1)
	s_and_not1_b32 vcc_lo, exec_lo, s3
	;; [unrolled: 5-line block ×5, first 2 shown]
	s_cbranch_vccnz .LBB64_24
; %bb.17:
	s_and_b32 vcc_lo, exec_lo, s26
	s_cbranch_vccz .LBB64_19
; %bb.18:
	s_mov_b32 s20, s14
.LBB64_19:
	s_mov_b32 s3, 0
	s_branch .LBB64_25
.LBB64_20:
                                        ; implicit-def: $sgpr20
	s_branch .LBB64_35
.LBB64_21:
                                        ; implicit-def: $sgpr20
	s_branch .LBB64_33
.LBB64_22:
                                        ; implicit-def: $sgpr20
	s_branch .LBB64_31
.LBB64_23:
	s_mov_b32 s3, -1
                                        ; implicit-def: $sgpr20
	s_branch .LBB64_28
.LBB64_24:
	s_mov_b32 s3, -1
                                        ; implicit-def: $sgpr20
.LBB64_25:
	s_delay_alu instid0(SALU_CYCLE_1)
	s_and_not1_b32 vcc_lo, exec_lo, s3
	s_cbranch_vccnz .LBB64_27
; %bb.26:
	s_mov_b32 s20, s12
.LBB64_27:
	s_mov_b32 s3, 0
.LBB64_28:
	s_delay_alu instid0(SALU_CYCLE_1)
	s_and_not1_b32 vcc_lo, exec_lo, s3
	s_cbranch_vccnz .LBB64_30
; %bb.29:
	s_mov_b32 s20, s10
.LBB64_30:
	s_cbranch_execnz .LBB64_32
.LBB64_31:
	s_mov_b32 s20, s6
.LBB64_32:
	s_cbranch_execnz .LBB64_34
.LBB64_33:
	s_mov_b32 s20, s4
.LBB64_34:
	s_cbranch_execnz .LBB64_36
.LBB64_35:
	s_mov_b32 s20, s18
.LBB64_36:
	s_mov_b32 s3, 0
.LBB64_37:
	s_delay_alu instid0(SALU_CYCLE_1)
	s_and_not1_b32 vcc_lo, exec_lo, s3
	s_cbranch_vccnz .LBB64_39
; %bb.38:
	s_add_i32 s20, s2, -7
.LBB64_39:
	s_load_b64 s[0:1], s[0:1], 0x0
	s_cmp_gt_u32 s20, 62
	s_cselect_b32 s2, -1, 0
	s_delay_alu instid0(SALU_CYCLE_1)
	v_cndmask_b32_e64 v1, 0, 1, s2
	s_waitcnt lgkmcnt(0)
	global_store_b8 v0, v1, s[0:1]
	s_nop 0
	s_sendmsg sendmsg(MSG_DEALLOC_VGPRS)
	s_endpgm
	.section	.rodata,"a",@progbits
	.p2align	6, 0x0
	.amdhsa_kernel _Z21device_test_warp_maskILj15EEvP10TestStatus
		.amdhsa_group_segment_fixed_size 0
		.amdhsa_private_segment_fixed_size 0
		.amdhsa_kernarg_size 8
		.amdhsa_user_sgpr_count 15
		.amdhsa_user_sgpr_dispatch_ptr 0
		.amdhsa_user_sgpr_queue_ptr 0
		.amdhsa_user_sgpr_kernarg_segment_ptr 1
		.amdhsa_user_sgpr_dispatch_id 0
		.amdhsa_user_sgpr_private_segment_size 0
		.amdhsa_wavefront_size32 1
		.amdhsa_uses_dynamic_stack 0
		.amdhsa_enable_private_segment 0
		.amdhsa_system_sgpr_workgroup_id_x 1
		.amdhsa_system_sgpr_workgroup_id_y 0
		.amdhsa_system_sgpr_workgroup_id_z 0
		.amdhsa_system_sgpr_workgroup_info 0
		.amdhsa_system_vgpr_workitem_id 0
		.amdhsa_next_free_vgpr 2
		.amdhsa_next_free_sgpr 28
		.amdhsa_reserve_vcc 1
		.amdhsa_float_round_mode_32 0
		.amdhsa_float_round_mode_16_64 0
		.amdhsa_float_denorm_mode_32 3
		.amdhsa_float_denorm_mode_16_64 3
		.amdhsa_dx10_clamp 1
		.amdhsa_ieee_mode 1
		.amdhsa_fp16_overflow 0
		.amdhsa_workgroup_processor_mode 1
		.amdhsa_memory_ordered 1
		.amdhsa_forward_progress 0
		.amdhsa_shared_vgpr_count 0
		.amdhsa_exception_fp_ieee_invalid_op 0
		.amdhsa_exception_fp_denorm_src 0
		.amdhsa_exception_fp_ieee_div_zero 0
		.amdhsa_exception_fp_ieee_overflow 0
		.amdhsa_exception_fp_ieee_underflow 0
		.amdhsa_exception_fp_ieee_inexact 0
		.amdhsa_exception_int_div_zero 0
	.end_amdhsa_kernel
	.section	.text._Z21device_test_warp_maskILj15EEvP10TestStatus,"axG",@progbits,_Z21device_test_warp_maskILj15EEvP10TestStatus,comdat
.Lfunc_end64:
	.size	_Z21device_test_warp_maskILj15EEvP10TestStatus, .Lfunc_end64-_Z21device_test_warp_maskILj15EEvP10TestStatus
                                        ; -- End function
	.section	.AMDGPU.csdata,"",@progbits
; Kernel info:
; codeLenInByte = 612
; NumSgprs: 30
; NumVgprs: 2
; ScratchSize: 0
; MemoryBound: 0
; FloatMode: 240
; IeeeMode: 1
; LDSByteSize: 0 bytes/workgroup (compile time only)
; SGPRBlocks: 3
; VGPRBlocks: 0
; NumSGPRsForWavesPerEU: 30
; NumVGPRsForWavesPerEU: 2
; Occupancy: 16
; WaveLimiterHint : 0
; COMPUTE_PGM_RSRC2:SCRATCH_EN: 0
; COMPUTE_PGM_RSRC2:USER_SGPR: 15
; COMPUTE_PGM_RSRC2:TRAP_HANDLER: 0
; COMPUTE_PGM_RSRC2:TGID_X_EN: 1
; COMPUTE_PGM_RSRC2:TGID_Y_EN: 0
; COMPUTE_PGM_RSRC2:TGID_Z_EN: 0
; COMPUTE_PGM_RSRC2:TIDIG_COMP_CNT: 0
	.section	.text._Z21device_test_warp_maskILj16EEvP10TestStatus,"axG",@progbits,_Z21device_test_warp_maskILj16EEvP10TestStatus,comdat
	.protected	_Z21device_test_warp_maskILj16EEvP10TestStatus ; -- Begin function _Z21device_test_warp_maskILj16EEvP10TestStatus
	.globl	_Z21device_test_warp_maskILj16EEvP10TestStatus
	.p2align	8
	.type	_Z21device_test_warp_maskILj16EEvP10TestStatus,@function
_Z21device_test_warp_maskILj16EEvP10TestStatus: ; @_Z21device_test_warp_maskILj16EEvP10TestStatus
; %bb.0:
	v_mbcnt_lo_u32_b32 v6, -1, 0
	s_mov_b32 s5, 0
	s_mov_b32 s2, -1
	s_mov_b32 s4, exec_lo
                                        ; implicit-def: $sgpr3
	s_delay_alu instid0(VALU_DEP_1) | instskip(NEXT) | instid1(VALU_DEP_1)
	v_and_b32_e32 v5, 16, v6
	v_lshlrev_b64 v[1:2], v5, 0xffff
	v_cmpx_ne_u32_e32 0, v5
	s_cbranch_execnz .LBB65_3
; %bb.1:
	s_or_b32 exec_lo, exec_lo, s4
	v_mov_b32_e32 v3, s3
	s_and_saveexec_b32 s4, s2
	s_cbranch_execnz .LBB65_8
.LBB65_2:
	s_or_b32 exec_lo, exec_lo, s4
	s_load_b64 s[0:1], s[0:1], 0x0
	s_waitcnt lgkmcnt(0)
	global_store_b8 v0, v3, s[0:1]
	s_nop 0
	s_sendmsg sendmsg(MSG_DEALLOC_VGPRS)
	s_endpgm
.LBB65_3:
	v_mov_b32_e32 v4, 0
	s_mov_b64 s[2:3], 0
                                        ; implicit-def: $sgpr6
                                        ; implicit-def: $sgpr8
                                        ; implicit-def: $sgpr7
	s_set_inst_prefetch_distance 0x1
	s_branch .LBB65_5
	.p2align	6
.LBB65_4:                               ;   in Loop: Header=BB65_5 Depth=1
	s_or_b32 exec_lo, exec_lo, s9
	s_xor_b32 s9, s7, -1
	s_and_b32 s10, exec_lo, s8
	s_delay_alu instid0(SALU_CYCLE_1) | instskip(SKIP_2) | instid1(SALU_CYCLE_1)
	s_or_b32 s5, s10, s5
	s_and_not1_b32 s6, s6, exec_lo
	s_and_b32 s9, s9, exec_lo
	s_or_b32 s6, s6, s9
	s_and_not1_b32 exec_lo, exec_lo, s5
	s_cbranch_execz .LBB65_7
.LBB65_5:                               ; =>This Inner Loop Header: Depth=1
	v_lshrrev_b64 v[7:8], s2, v[1:2]
	s_or_b32 s7, s7, exec_lo
	s_or_b32 s8, s8, exec_lo
	s_mov_b32 s9, exec_lo
	s_delay_alu instid0(VALU_DEP_1) | instskip(NEXT) | instid1(VALU_DEP_1)
	v_and_b32_e32 v3, 1, v7
	v_cmpx_eq_u64_e32 0, v[3:4]
	s_cbranch_execz .LBB65_4
; %bb.6:                                ;   in Loop: Header=BB65_5 Depth=1
	s_add_u32 s2, s2, 1
	s_addc_u32 s3, s3, 0
	v_cmp_eq_u32_e32 vcc_lo, s2, v5
	s_and_not1_b32 s8, s8, exec_lo
	s_and_not1_b32 s7, s7, exec_lo
	s_and_b32 s10, vcc_lo, exec_lo
	s_delay_alu instid0(SALU_CYCLE_1)
	s_or_b32 s8, s8, s10
	s_branch .LBB65_4
.LBB65_7:
	s_set_inst_prefetch_distance 0x2
	s_or_b32 exec_lo, exec_lo, s5
	s_mov_b32 s3, 0
	s_or_not1_b32 s2, s6, exec_lo
	s_or_b32 exec_lo, exec_lo, s4
	v_mov_b32_e32 v3, s3
	s_and_saveexec_b32 s4, s2
	s_cbranch_execz .LBB65_2
.LBB65_8:
	s_mov_b32 s6, -1
	s_mov_b32 s2, exec_lo
                                        ; implicit-def: $sgpr3
	v_cmpx_gt_u32_e32 -16, v6
	s_cbranch_execz .LBB65_38
; %bb.9:
	v_or_b32_e32 v3, 1, v5
	s_mov_b32 s3, 0
	s_mov_b32 s6, 0
	s_mov_b32 s5, exec_lo
	s_delay_alu instid0(VALU_DEP_1) | instskip(NEXT) | instid1(VALU_DEP_1)
	v_lshrrev_b32_e32 v3, v3, v1
	v_and_b32_e32 v3, 1, v3
	s_delay_alu instid0(VALU_DEP_1)
	v_cmpx_eq_u32_e32 1, v3
	s_cbranch_execz .LBB65_37
; %bb.10:
	v_or_b32_e32 v3, 2, v5
	s_mov_b32 s7, 0
	s_mov_b32 s6, exec_lo
	s_delay_alu instid0(VALU_DEP_1) | instskip(NEXT) | instid1(VALU_DEP_1)
	v_lshrrev_b32_e32 v3, v3, v1
	v_and_b32_e32 v3, 1, v3
	s_delay_alu instid0(VALU_DEP_1)
	v_cmpx_eq_u32_e32 1, v3
	s_cbranch_execz .LBB65_36
; %bb.11:
	v_or_b32_e32 v3, 3, v5
	;; [unrolled: 10-line block ×13, first 2 shown]
	s_mov_b32 s19, 0
	s_mov_b32 s18, exec_lo
	s_delay_alu instid0(VALU_DEP_1) | instskip(NEXT) | instid1(VALU_DEP_1)
	v_lshrrev_b32_e32 v3, v3, v1
	v_and_b32_e32 v3, 1, v3
	s_delay_alu instid0(VALU_DEP_1)
	v_cmpx_eq_u32_e32 1, v3
; %bb.23:
	v_or_b32_e32 v3, 15, v6
	s_delay_alu instid0(VALU_DEP_1) | instskip(NEXT) | instid1(VALU_DEP_1)
	v_lshrrev_b32_e32 v3, v3, v1
	v_and_b32_e32 v3, 1, v3
	s_delay_alu instid0(VALU_DEP_1)
	v_cmp_eq_u32_e32 vcc_lo, 1, v3
	s_and_b32 s19, vcc_lo, exec_lo
; %bb.24:
	s_or_b32 exec_lo, exec_lo, s18
	s_delay_alu instid0(SALU_CYCLE_1)
	s_and_b32 s18, s19, exec_lo
.LBB65_25:
	s_or_b32 exec_lo, exec_lo, s17
	s_delay_alu instid0(SALU_CYCLE_1)
	s_and_b32 s17, s18, exec_lo
.LBB65_26:
	s_or_b32 exec_lo, exec_lo, s16
	s_delay_alu instid0(SALU_CYCLE_1)
	s_and_b32 s16, s17, exec_lo
.LBB65_27:
	s_or_b32 exec_lo, exec_lo, s15
	s_delay_alu instid0(SALU_CYCLE_1)
	s_and_b32 s15, s16, exec_lo
.LBB65_28:
	s_or_b32 exec_lo, exec_lo, s14
	s_delay_alu instid0(SALU_CYCLE_1)
	s_and_b32 s14, s15, exec_lo
.LBB65_29:
	s_or_b32 exec_lo, exec_lo, s13
	s_delay_alu instid0(SALU_CYCLE_1)
	s_and_b32 s13, s14, exec_lo
.LBB65_30:
	s_or_b32 exec_lo, exec_lo, s12
	s_delay_alu instid0(SALU_CYCLE_1)
	s_and_b32 s12, s13, exec_lo
.LBB65_31:
	s_or_b32 exec_lo, exec_lo, s11
	s_delay_alu instid0(SALU_CYCLE_1)
	s_and_b32 s11, s12, exec_lo
.LBB65_32:
	s_or_b32 exec_lo, exec_lo, s10
	s_delay_alu instid0(SALU_CYCLE_1)
	s_and_b32 s10, s11, exec_lo
.LBB65_33:
	s_or_b32 exec_lo, exec_lo, s9
	s_delay_alu instid0(SALU_CYCLE_1)
	s_and_b32 s9, s10, exec_lo
.LBB65_34:
	s_or_b32 exec_lo, exec_lo, s8
	s_delay_alu instid0(SALU_CYCLE_1)
	s_and_b32 s8, s9, exec_lo
.LBB65_35:
	s_or_b32 exec_lo, exec_lo, s7
	s_delay_alu instid0(SALU_CYCLE_1)
	s_and_b32 s7, s8, exec_lo
.LBB65_36:
	s_or_b32 exec_lo, exec_lo, s6
	s_delay_alu instid0(SALU_CYCLE_1)
	s_and_b32 s6, s7, exec_lo
.LBB65_37:
	s_or_b32 exec_lo, exec_lo, s5
	s_delay_alu instid0(SALU_CYCLE_1)
	s_or_not1_b32 s6, s6, exec_lo
.LBB65_38:
	s_or_b32 exec_lo, exec_lo, s2
	v_mov_b32_e32 v3, s3
	s_and_saveexec_b32 s5, s6
	s_cbranch_execz .LBB65_44
; %bb.39:
	v_add_nc_u32_e32 v3, 16, v5
	s_mov_b32 s2, -1
	s_mov_b32 s6, exec_lo
	s_delay_alu instid0(VALU_DEP_1)
	v_cmpx_gt_u32_e32 64, v3
	s_cbranch_execz .LBB65_43
; %bb.40:
	v_mov_b32_e32 v4, 0
	s_mov_b32 s7, 0
                                        ; implicit-def: $sgpr8
	.p2align	6
.LBB65_41:                              ; =>This Inner Loop Header: Depth=1
	v_lshlrev_b64 v[5:6], v3, 1
	v_cmp_lt_u32_e32 vcc_lo, 62, v3
	v_add_co_u32 v3, s3, v3, 1
	s_delay_alu instid0(VALU_DEP_1) | instskip(NEXT) | instid1(VALU_DEP_4)
	v_add_co_ci_u32_e64 v4, s3, 0, v4, s3
	v_and_b32_e32 v6, v6, v2
	v_and_b32_e32 v5, v5, v1
	s_delay_alu instid0(VALU_DEP_1) | instskip(SKIP_1) | instid1(VALU_DEP_2)
	v_cmp_ne_u64_e64 s2, 0, v[5:6]
	v_cmp_eq_u64_e64 s3, 0, v[5:6]
	s_or_b32 s2, vcc_lo, s2
	s_delay_alu instid0(SALU_CYCLE_1) | instskip(NEXT) | instid1(SALU_CYCLE_1)
	s_and_b32 s2, exec_lo, s2
	s_or_b32 s7, s2, s7
	s_and_not1_b32 s2, s8, exec_lo
	s_delay_alu instid0(VALU_DEP_1) | instskip(NEXT) | instid1(SALU_CYCLE_1)
	s_and_b32 s3, s3, exec_lo
	s_or_b32 s8, s2, s3
	s_and_not1_b32 exec_lo, exec_lo, s7
	s_cbranch_execnz .LBB65_41
; %bb.42:
	s_or_b32 exec_lo, exec_lo, s7
	s_delay_alu instid0(SALU_CYCLE_1)
	s_or_not1_b32 s2, s8, exec_lo
.LBB65_43:
	s_or_b32 exec_lo, exec_lo, s6
	v_cndmask_b32_e64 v3, 0, 1, s2
.LBB65_44:
	s_or_b32 exec_lo, exec_lo, s5
	s_delay_alu instid0(SALU_CYCLE_1)
	s_or_b32 exec_lo, exec_lo, s4
	s_load_b64 s[0:1], s[0:1], 0x0
	s_waitcnt lgkmcnt(0)
	global_store_b8 v0, v3, s[0:1]
	s_nop 0
	s_sendmsg sendmsg(MSG_DEALLOC_VGPRS)
	s_endpgm
	.section	.rodata,"a",@progbits
	.p2align	6, 0x0
	.amdhsa_kernel _Z21device_test_warp_maskILj16EEvP10TestStatus
		.amdhsa_group_segment_fixed_size 0
		.amdhsa_private_segment_fixed_size 0
		.amdhsa_kernarg_size 8
		.amdhsa_user_sgpr_count 15
		.amdhsa_user_sgpr_dispatch_ptr 0
		.amdhsa_user_sgpr_queue_ptr 0
		.amdhsa_user_sgpr_kernarg_segment_ptr 1
		.amdhsa_user_sgpr_dispatch_id 0
		.amdhsa_user_sgpr_private_segment_size 0
		.amdhsa_wavefront_size32 1
		.amdhsa_uses_dynamic_stack 0
		.amdhsa_enable_private_segment 0
		.amdhsa_system_sgpr_workgroup_id_x 1
		.amdhsa_system_sgpr_workgroup_id_y 0
		.amdhsa_system_sgpr_workgroup_id_z 0
		.amdhsa_system_sgpr_workgroup_info 0
		.amdhsa_system_vgpr_workitem_id 0
		.amdhsa_next_free_vgpr 9
		.amdhsa_next_free_sgpr 20
		.amdhsa_reserve_vcc 1
		.amdhsa_float_round_mode_32 0
		.amdhsa_float_round_mode_16_64 0
		.amdhsa_float_denorm_mode_32 3
		.amdhsa_float_denorm_mode_16_64 3
		.amdhsa_dx10_clamp 1
		.amdhsa_ieee_mode 1
		.amdhsa_fp16_overflow 0
		.amdhsa_workgroup_processor_mode 1
		.amdhsa_memory_ordered 1
		.amdhsa_forward_progress 0
		.amdhsa_shared_vgpr_count 0
		.amdhsa_exception_fp_ieee_invalid_op 0
		.amdhsa_exception_fp_denorm_src 0
		.amdhsa_exception_fp_ieee_div_zero 0
		.amdhsa_exception_fp_ieee_overflow 0
		.amdhsa_exception_fp_ieee_underflow 0
		.amdhsa_exception_fp_ieee_inexact 0
		.amdhsa_exception_int_div_zero 0
	.end_amdhsa_kernel
	.section	.text._Z21device_test_warp_maskILj16EEvP10TestStatus,"axG",@progbits,_Z21device_test_warp_maskILj16EEvP10TestStatus,comdat
.Lfunc_end65:
	.size	_Z21device_test_warp_maskILj16EEvP10TestStatus, .Lfunc_end65-_Z21device_test_warp_maskILj16EEvP10TestStatus
                                        ; -- End function
	.section	.AMDGPU.csdata,"",@progbits
; Kernel info:
; codeLenInByte = 1192
; NumSgprs: 22
; NumVgprs: 9
; ScratchSize: 0
; MemoryBound: 0
; FloatMode: 240
; IeeeMode: 1
; LDSByteSize: 0 bytes/workgroup (compile time only)
; SGPRBlocks: 2
; VGPRBlocks: 1
; NumSGPRsForWavesPerEU: 22
; NumVGPRsForWavesPerEU: 9
; Occupancy: 16
; WaveLimiterHint : 0
; COMPUTE_PGM_RSRC2:SCRATCH_EN: 0
; COMPUTE_PGM_RSRC2:USER_SGPR: 15
; COMPUTE_PGM_RSRC2:TRAP_HANDLER: 0
; COMPUTE_PGM_RSRC2:TGID_X_EN: 1
; COMPUTE_PGM_RSRC2:TGID_Y_EN: 0
; COMPUTE_PGM_RSRC2:TGID_Z_EN: 0
; COMPUTE_PGM_RSRC2:TIDIG_COMP_CNT: 0
	.section	.text._Z21device_test_warp_maskILj17EEvP10TestStatus,"axG",@progbits,_Z21device_test_warp_maskILj17EEvP10TestStatus,comdat
	.protected	_Z21device_test_warp_maskILj17EEvP10TestStatus ; -- Begin function _Z21device_test_warp_maskILj17EEvP10TestStatus
	.globl	_Z21device_test_warp_maskILj17EEvP10TestStatus
	.p2align	8
	.type	_Z21device_test_warp_maskILj17EEvP10TestStatus,@function
_Z21device_test_warp_maskILj17EEvP10TestStatus: ; @_Z21device_test_warp_maskILj17EEvP10TestStatus
; %bb.0:
	s_mov_b32 s19, 17
	s_mov_b64 s[16:17], 25
	s_mov_b32 s11, 0
	s_branch .LBB66_3
.LBB66_1:                               ;   in Loop: Header=BB66_3 Depth=1
	s_add_i32 s10, s19, 6
	s_mov_b32 s27, -1
                                        ; implicit-def: $sgpr19
                                        ; implicit-def: $sgpr16_sgpr17
.LBB66_2:                               ;   in Loop: Header=BB66_3 Depth=1
	s_and_b32 vcc_lo, exec_lo, s28
	s_cbranch_vccnz .LBB66_13
.LBB66_3:                               ; =>This Inner Loop Header: Depth=1
	s_mov_b64 s[2:3], s[16:17]
	s_mov_b32 s26, 0
	s_add_u32 s18, s2, -7
	s_mov_b32 s27, 0
	s_lshl_b64 s[4:5], 1, s18
	s_mov_b32 s25, 0
	s_and_b32 s10, s4, 0x1fffe
	s_mov_b32 s24, 0
	s_cmp_lg_u64 s[10:11], 0
	s_mov_b32 s23, 0
	s_mov_b32 s22, 0
	;; [unrolled: 1-line block ×3, first 2 shown]
	s_mov_b32 s21, -1
	s_mov_b32 s28, -1
                                        ; implicit-def: $sgpr16_sgpr17
                                        ; implicit-def: $sgpr10
                                        ; implicit-def: $sgpr4_sgpr5
                                        ; implicit-def: $sgpr6_sgpr7
                                        ; implicit-def: $sgpr8_sgpr9
                                        ; implicit-def: $sgpr12_sgpr13
                                        ; implicit-def: $sgpr14_sgpr15
	s_cbranch_scc1 .LBB66_2
; %bb.4:                                ;   in Loop: Header=BB66_3 Depth=1
	s_add_u32 s4, s2, -6
	s_mov_b32 s20, -1
	s_lshl_b64 s[6:7], 1, s4
	s_mov_b32 s21, 0
	s_and_b32 s10, s6, 0x1fffe
                                        ; implicit-def: $sgpr16_sgpr17
                                        ; implicit-def: $sgpr6_sgpr7
                                        ; implicit-def: $sgpr8_sgpr9
                                        ; implicit-def: $sgpr12_sgpr13
                                        ; implicit-def: $sgpr14_sgpr15
	s_delay_alu instid0(SALU_CYCLE_1)
	s_cmp_eq_u64 s[10:11], 0
                                        ; implicit-def: $sgpr10
	s_cbranch_scc0 .LBB66_2
; %bb.5:                                ;   in Loop: Header=BB66_3 Depth=1
	s_add_u32 s6, s2, -5
	s_mov_b32 s22, -1
	s_lshl_b64 s[8:9], 1, s6
	s_mov_b32 s20, 0
	s_and_b32 s10, s8, 0x1fffe
                                        ; implicit-def: $sgpr16_sgpr17
                                        ; implicit-def: $sgpr8_sgpr9
                                        ; implicit-def: $sgpr12_sgpr13
                                        ; implicit-def: $sgpr14_sgpr15
	s_delay_alu instid0(SALU_CYCLE_1)
	s_cmp_eq_u64 s[10:11], 0
                                        ; implicit-def: $sgpr10
	s_cbranch_scc0 .LBB66_2
; %bb.6:                                ;   in Loop: Header=BB66_3 Depth=1
	s_add_u32 s8, s2, -4
	s_mov_b32 s23, -1
	s_lshl_b64 s[12:13], 1, s8
	s_mov_b32 s22, 0
	s_and_b32 s10, s12, 0x1fffe
                                        ; implicit-def: $sgpr16_sgpr17
                                        ; implicit-def: $sgpr12_sgpr13
                                        ; implicit-def: $sgpr14_sgpr15
	s_delay_alu instid0(SALU_CYCLE_1)
	s_cmp_eq_u64 s[10:11], 0
                                        ; implicit-def: $sgpr10
	s_cbranch_scc0 .LBB66_2
; %bb.7:                                ;   in Loop: Header=BB66_3 Depth=1
	s_add_u32 s12, s2, -3
	s_mov_b32 s24, -1
	s_lshl_b64 s[14:15], 1, s12
	s_mov_b32 s23, 0
	s_and_b32 s10, s14, 0x1fffe
                                        ; implicit-def: $sgpr16_sgpr17
                                        ; implicit-def: $sgpr14_sgpr15
	s_delay_alu instid0(SALU_CYCLE_1)
	s_cmp_eq_u64 s[10:11], 0
                                        ; implicit-def: $sgpr10
	s_cbranch_scc0 .LBB66_2
; %bb.8:                                ;   in Loop: Header=BB66_3 Depth=1
	s_add_u32 s14, s2, -2
	s_mov_b32 s25, -1
	s_lshl_b64 s[16:17], 1, s14
	s_mov_b32 s24, 0
	s_and_b32 s10, s16, 0x1fffe
                                        ; implicit-def: $sgpr16_sgpr17
	s_delay_alu instid0(SALU_CYCLE_1)
	s_cmp_eq_u64 s[10:11], 0
                                        ; implicit-def: $sgpr10
	s_cbranch_scc0 .LBB66_2
; %bb.9:                                ;   in Loop: Header=BB66_3 Depth=1
	s_cmpk_lg_i32 s2, 0x41
	s_mov_b32 s25, 0
	s_cbranch_scc0 .LBB66_1
; %bb.10:                               ;   in Loop: Header=BB66_3 Depth=1
	s_add_i32 s5, s2, -1
	s_mov_b32 s26, -1
	s_lshl_b64 s[16:17], 1, s5
	s_delay_alu instid0(SALU_CYCLE_1) | instskip(NEXT) | instid1(SALU_CYCLE_1)
	s_and_b32 s10, s16, 0x1fffe
                                        ; implicit-def: $sgpr16_sgpr17
	s_cmp_eq_u64 s[10:11], 0
	s_cbranch_scc1 .LBB66_12
; %bb.11:                               ;   in Loop: Header=BB66_3 Depth=1
                                        ; implicit-def: $sgpr10
	s_branch .LBB66_2
.LBB66_12:                              ;   in Loop: Header=BB66_3 Depth=1
	s_lshl_b64 s[16:17], 1, s2
	s_add_i32 s19, s19, 8
	s_and_b32 s10, s16, 0x1fffe
	s_mov_b32 s26, 0
	s_cmp_lg_u64 s[10:11], 0
                                        ; implicit-def: $sgpr10
	s_cselect_b32 s28, -1, 0
	s_add_u32 s16, s2, 8
	s_addc_u32 s17, s3, 0
	s_branch .LBB66_2
.LBB66_13:
	s_and_b32 vcc_lo, exec_lo, s21
	s_mov_b32 s3, -1
	s_cbranch_vccnz .LBB66_43
; %bb.14:
	s_xor_b32 s3, s20, -1
	s_delay_alu instid0(SALU_CYCLE_1)
	s_and_not1_b32 vcc_lo, exec_lo, s3
	s_cbranch_vccnz .LBB66_22
; %bb.15:
	s_xor_b32 s3, s22, -1
	s_delay_alu instid0(SALU_CYCLE_1)
	s_and_not1_b32 vcc_lo, exec_lo, s3
	;; [unrolled: 5-line block ×6, first 2 shown]
	s_cbranch_vccnz .LBB66_30
; %bb.20:
	s_xor_b32 s3, s26, -1
	s_delay_alu instid0(SALU_CYCLE_1)
	s_and_b32 vcc_lo, exec_lo, s3
	s_cbranch_vccz .LBB66_27
; %bb.21:
	s_add_i32 s10, s16, -9
	s_mov_b32 s3, 0
	s_branch .LBB66_28
.LBB66_22:
                                        ; implicit-def: $sgpr10
	s_branch .LBB66_41
.LBB66_23:
                                        ; implicit-def: $sgpr10
	s_branch .LBB66_39
.LBB66_24:
                                        ; implicit-def: $sgpr10
	s_branch .LBB66_37
.LBB66_25:
	s_mov_b32 s3, -1
                                        ; implicit-def: $sgpr10
	s_branch .LBB66_34
.LBB66_26:
	s_mov_b32 s3, -1
                                        ; implicit-def: $sgpr10
	s_branch .LBB66_31
.LBB66_27:
	s_mov_b32 s3, -1
                                        ; implicit-def: $sgpr10
.LBB66_28:
	s_delay_alu instid0(SALU_CYCLE_1)
	s_and_not1_b32 vcc_lo, exec_lo, s3
	s_cbranch_vccnz .LBB66_30
; %bb.29:
	s_mov_b32 s10, s14
.LBB66_30:
	s_mov_b32 s3, 0
.LBB66_31:
	s_delay_alu instid0(SALU_CYCLE_1)
	s_and_not1_b32 vcc_lo, exec_lo, s3
	s_cbranch_vccnz .LBB66_33
; %bb.32:
	s_mov_b32 s10, s12
.LBB66_33:
	s_mov_b32 s3, 0
.LBB66_34:
	s_delay_alu instid0(SALU_CYCLE_1)
	s_and_not1_b32 vcc_lo, exec_lo, s3
	s_cbranch_vccnz .LBB66_36
; %bb.35:
	s_mov_b32 s10, s8
.LBB66_36:
	s_cbranch_execnz .LBB66_38
.LBB66_37:
	s_mov_b32 s10, s6
.LBB66_38:
	s_cbranch_execnz .LBB66_40
.LBB66_39:
	s_mov_b32 s10, s4
.LBB66_40:
	s_cbranch_execnz .LBB66_42
.LBB66_41:
	s_mov_b32 s10, s18
.LBB66_42:
	s_mov_b32 s3, 0
.LBB66_43:
	s_delay_alu instid0(SALU_CYCLE_1)
	s_and_not1_b32 vcc_lo, exec_lo, s3
	s_cbranch_vccnz .LBB66_45
; %bb.44:
	s_add_i32 s10, s2, -8
.LBB66_45:
	s_load_b64 s[0:1], s[0:1], 0x0
	s_cmp_gt_u32 s10, 62
	s_cselect_b32 s2, -1, 0
	s_delay_alu instid0(SALU_CYCLE_1)
	v_cndmask_b32_e64 v1, 0, 1, s2
	s_waitcnt lgkmcnt(0)
	global_store_b8 v0, v1, s[0:1]
	s_nop 0
	s_sendmsg sendmsg(MSG_DEALLOC_VGPRS)
	s_endpgm
	.section	.rodata,"a",@progbits
	.p2align	6, 0x0
	.amdhsa_kernel _Z21device_test_warp_maskILj17EEvP10TestStatus
		.amdhsa_group_segment_fixed_size 0
		.amdhsa_private_segment_fixed_size 0
		.amdhsa_kernarg_size 8
		.amdhsa_user_sgpr_count 15
		.amdhsa_user_sgpr_dispatch_ptr 0
		.amdhsa_user_sgpr_queue_ptr 0
		.amdhsa_user_sgpr_kernarg_segment_ptr 1
		.amdhsa_user_sgpr_dispatch_id 0
		.amdhsa_user_sgpr_private_segment_size 0
		.amdhsa_wavefront_size32 1
		.amdhsa_uses_dynamic_stack 0
		.amdhsa_enable_private_segment 0
		.amdhsa_system_sgpr_workgroup_id_x 1
		.amdhsa_system_sgpr_workgroup_id_y 0
		.amdhsa_system_sgpr_workgroup_id_z 0
		.amdhsa_system_sgpr_workgroup_info 0
		.amdhsa_system_vgpr_workitem_id 0
		.amdhsa_next_free_vgpr 2
		.amdhsa_next_free_sgpr 29
		.amdhsa_reserve_vcc 1
		.amdhsa_float_round_mode_32 0
		.amdhsa_float_round_mode_16_64 0
		.amdhsa_float_denorm_mode_32 3
		.amdhsa_float_denorm_mode_16_64 3
		.amdhsa_dx10_clamp 1
		.amdhsa_ieee_mode 1
		.amdhsa_fp16_overflow 0
		.amdhsa_workgroup_processor_mode 1
		.amdhsa_memory_ordered 1
		.amdhsa_forward_progress 0
		.amdhsa_shared_vgpr_count 0
		.amdhsa_exception_fp_ieee_invalid_op 0
		.amdhsa_exception_fp_denorm_src 0
		.amdhsa_exception_fp_ieee_div_zero 0
		.amdhsa_exception_fp_ieee_overflow 0
		.amdhsa_exception_fp_ieee_underflow 0
		.amdhsa_exception_fp_ieee_inexact 0
		.amdhsa_exception_int_div_zero 0
	.end_amdhsa_kernel
	.section	.text._Z21device_test_warp_maskILj17EEvP10TestStatus,"axG",@progbits,_Z21device_test_warp_maskILj17EEvP10TestStatus,comdat
.Lfunc_end66:
	.size	_Z21device_test_warp_maskILj17EEvP10TestStatus, .Lfunc_end66-_Z21device_test_warp_maskILj17EEvP10TestStatus
                                        ; -- End function
	.section	.AMDGPU.csdata,"",@progbits
; Kernel info:
; codeLenInByte = 684
; NumSgprs: 31
; NumVgprs: 2
; ScratchSize: 0
; MemoryBound: 0
; FloatMode: 240
; IeeeMode: 1
; LDSByteSize: 0 bytes/workgroup (compile time only)
; SGPRBlocks: 3
; VGPRBlocks: 0
; NumSGPRsForWavesPerEU: 31
; NumVGPRsForWavesPerEU: 2
; Occupancy: 16
; WaveLimiterHint : 0
; COMPUTE_PGM_RSRC2:SCRATCH_EN: 0
; COMPUTE_PGM_RSRC2:USER_SGPR: 15
; COMPUTE_PGM_RSRC2:TRAP_HANDLER: 0
; COMPUTE_PGM_RSRC2:TGID_X_EN: 1
; COMPUTE_PGM_RSRC2:TGID_Y_EN: 0
; COMPUTE_PGM_RSRC2:TGID_Z_EN: 0
; COMPUTE_PGM_RSRC2:TIDIG_COMP_CNT: 0
	.section	.text._Z21device_test_warp_maskILj18EEvP10TestStatus,"axG",@progbits,_Z21device_test_warp_maskILj18EEvP10TestStatus,comdat
	.protected	_Z21device_test_warp_maskILj18EEvP10TestStatus ; -- Begin function _Z21device_test_warp_maskILj18EEvP10TestStatus
	.globl	_Z21device_test_warp_maskILj18EEvP10TestStatus
	.p2align	8
	.type	_Z21device_test_warp_maskILj18EEvP10TestStatus,@function
_Z21device_test_warp_maskILj18EEvP10TestStatus: ; @_Z21device_test_warp_maskILj18EEvP10TestStatus
; %bb.0:
	s_mov_b32 s8, 18
	s_mov_b64 s[6:7], 19
	s_mov_b32 s5, 0
	s_set_inst_prefetch_distance 0x1
	s_branch .LBB67_3
	.p2align	6
.LBB67_1:                               ;   in Loop: Header=BB67_3 Depth=1
	s_mov_b32 s10, 0
.LBB67_2:                               ;   in Loop: Header=BB67_3 Depth=1
	s_and_b32 vcc_lo, exec_lo, s4
	s_cbranch_vccnz .LBB67_6
.LBB67_3:                               ; =>This Inner Loop Header: Depth=1
	s_mov_b64 s[2:3], s[6:7]
	s_mov_b32 s10, -1
	s_lshl_b64 s[6:7], 1, s2
                                        ; implicit-def: $sgpr9
	s_delay_alu instid0(SALU_CYCLE_1) | instskip(NEXT) | instid1(SALU_CYCLE_1)
	s_and_b32 s4, s6, 0x2aaaa
                                        ; implicit-def: $sgpr6_sgpr7
	s_cmp_lg_u64 s[4:5], 0
	s_mov_b32 s4, -1
	s_cbranch_scc1 .LBB67_2
; %bb.4:                                ;   in Loop: Header=BB67_3 Depth=1
	s_cmp_lg_u32 s2, 63
	s_mov_b32 s9, 63
                                        ; implicit-def: $sgpr6_sgpr7
	s_cbranch_scc0 .LBB67_1
; %bb.5:                                ;   in Loop: Header=BB67_3 Depth=1
	s_add_i32 s4, s2, 1
	s_or_b32 s9, s8, 1
	s_lshl_b64 s[6:7], 1, s4
	s_delay_alu instid0(SALU_CYCLE_1) | instskip(NEXT) | instid1(SALU_CYCLE_1)
	s_and_b32 s4, s6, 0x15554
	s_cmp_lg_u64 s[4:5], 0
	s_cselect_b32 s4, -1, 0
	s_add_u32 s6, s2, 2
	s_addc_u32 s7, s3, 0
	s_add_i32 s8, s8, 2
	s_branch .LBB67_1
.LBB67_6:
	s_set_inst_prefetch_distance 0x2
	s_and_b32 vcc_lo, exec_lo, s10
	s_cbranch_vccz .LBB67_8
; %bb.7:
	s_add_i32 s9, s2, -1
.LBB67_8:
	s_load_b64 s[0:1], s[0:1], 0x0
	s_cmp_gt_u32 s9, 62
	s_cselect_b32 s2, -1, 0
	s_delay_alu instid0(SALU_CYCLE_1)
	v_cndmask_b32_e64 v1, 0, 1, s2
	s_waitcnt lgkmcnt(0)
	global_store_b8 v0, v1, s[0:1]
	s_nop 0
	s_sendmsg sendmsg(MSG_DEALLOC_VGPRS)
	s_endpgm
	.section	.rodata,"a",@progbits
	.p2align	6, 0x0
	.amdhsa_kernel _Z21device_test_warp_maskILj18EEvP10TestStatus
		.amdhsa_group_segment_fixed_size 0
		.amdhsa_private_segment_fixed_size 0
		.amdhsa_kernarg_size 8
		.amdhsa_user_sgpr_count 15
		.amdhsa_user_sgpr_dispatch_ptr 0
		.amdhsa_user_sgpr_queue_ptr 0
		.amdhsa_user_sgpr_kernarg_segment_ptr 1
		.amdhsa_user_sgpr_dispatch_id 0
		.amdhsa_user_sgpr_private_segment_size 0
		.amdhsa_wavefront_size32 1
		.amdhsa_uses_dynamic_stack 0
		.amdhsa_enable_private_segment 0
		.amdhsa_system_sgpr_workgroup_id_x 1
		.amdhsa_system_sgpr_workgroup_id_y 0
		.amdhsa_system_sgpr_workgroup_id_z 0
		.amdhsa_system_sgpr_workgroup_info 0
		.amdhsa_system_vgpr_workitem_id 0
		.amdhsa_next_free_vgpr 2
		.amdhsa_next_free_sgpr 11
		.amdhsa_reserve_vcc 1
		.amdhsa_float_round_mode_32 0
		.amdhsa_float_round_mode_16_64 0
		.amdhsa_float_denorm_mode_32 3
		.amdhsa_float_denorm_mode_16_64 3
		.amdhsa_dx10_clamp 1
		.amdhsa_ieee_mode 1
		.amdhsa_fp16_overflow 0
		.amdhsa_workgroup_processor_mode 1
		.amdhsa_memory_ordered 1
		.amdhsa_forward_progress 0
		.amdhsa_shared_vgpr_count 0
		.amdhsa_exception_fp_ieee_invalid_op 0
		.amdhsa_exception_fp_denorm_src 0
		.amdhsa_exception_fp_ieee_div_zero 0
		.amdhsa_exception_fp_ieee_overflow 0
		.amdhsa_exception_fp_ieee_underflow 0
		.amdhsa_exception_fp_ieee_inexact 0
		.amdhsa_exception_int_div_zero 0
	.end_amdhsa_kernel
	.section	.text._Z21device_test_warp_maskILj18EEvP10TestStatus,"axG",@progbits,_Z21device_test_warp_maskILj18EEvP10TestStatus,comdat
.Lfunc_end67:
	.size	_Z21device_test_warp_maskILj18EEvP10TestStatus, .Lfunc_end67-_Z21device_test_warp_maskILj18EEvP10TestStatus
                                        ; -- End function
	.section	.AMDGPU.csdata,"",@progbits
; Kernel info:
; codeLenInByte = 196
; NumSgprs: 13
; NumVgprs: 2
; ScratchSize: 0
; MemoryBound: 0
; FloatMode: 240
; IeeeMode: 1
; LDSByteSize: 0 bytes/workgroup (compile time only)
; SGPRBlocks: 1
; VGPRBlocks: 0
; NumSGPRsForWavesPerEU: 13
; NumVGPRsForWavesPerEU: 2
; Occupancy: 16
; WaveLimiterHint : 0
; COMPUTE_PGM_RSRC2:SCRATCH_EN: 0
; COMPUTE_PGM_RSRC2:USER_SGPR: 15
; COMPUTE_PGM_RSRC2:TRAP_HANDLER: 0
; COMPUTE_PGM_RSRC2:TGID_X_EN: 1
; COMPUTE_PGM_RSRC2:TGID_Y_EN: 0
; COMPUTE_PGM_RSRC2:TGID_Z_EN: 0
; COMPUTE_PGM_RSRC2:TIDIG_COMP_CNT: 0
	.section	.text._Z21device_test_warp_maskILj19EEvP10TestStatus,"axG",@progbits,_Z21device_test_warp_maskILj19EEvP10TestStatus,comdat
	.protected	_Z21device_test_warp_maskILj19EEvP10TestStatus ; -- Begin function _Z21device_test_warp_maskILj19EEvP10TestStatus
	.globl	_Z21device_test_warp_maskILj19EEvP10TestStatus
	.p2align	8
	.type	_Z21device_test_warp_maskILj19EEvP10TestStatus,@function
_Z21device_test_warp_maskILj19EEvP10TestStatus: ; @_Z21device_test_warp_maskILj19EEvP10TestStatus
; %bb.0:
	s_mov_b32 s23, 19
	s_mov_b64 s[20:21], 28
	s_mov_b32 s11, 0
	s_branch .LBB68_3
.LBB68_1:                               ;   in Loop: Header=BB68_3 Depth=1
	s_mov_b32 s34, 0
.LBB68_2:                               ;   in Loop: Header=BB68_3 Depth=1
	s_and_b32 vcc_lo, exec_lo, s10
	s_cbranch_vccnz .LBB68_13
.LBB68_3:                               ; =>This Inner Loop Header: Depth=1
	s_mov_b64 s[2:3], s[20:21]
	s_mov_b32 s25, -1
	s_add_u32 s22, s2, -8
	s_mov_b32 s31, 0
	s_lshl_b64 s[4:5], 1, s22
	s_mov_b32 s34, 0
	s_and_b32 s10, s4, 0x7fffe
	s_mov_b32 s33, 0
	s_cmp_lg_u64 s[10:11], 0
	s_mov_b32 s30, 0
	s_mov_b32 s29, 0
	;; [unrolled: 1-line block ×5, first 2 shown]
	s_mov_b32 s10, -1
                                        ; implicit-def: $sgpr20_sgpr21
                                        ; implicit-def: $sgpr24
                                        ; implicit-def: $sgpr4_sgpr5
                                        ; implicit-def: $sgpr6_sgpr7
                                        ; implicit-def: $sgpr8_sgpr9
                                        ; implicit-def: $sgpr12_sgpr13
                                        ; implicit-def: $sgpr14_sgpr15
                                        ; implicit-def: $sgpr16_sgpr17
                                        ; implicit-def: $sgpr18_sgpr19
	s_cbranch_scc1 .LBB68_2
; %bb.4:                                ;   in Loop: Header=BB68_3 Depth=1
	s_add_u32 s4, s2, -7
	s_mov_b32 s26, -1
	s_lshl_b64 s[6:7], 1, s4
	s_mov_b32 s25, 0
	s_and_b32 s10, s6, 0x7fffe
                                        ; implicit-def: $sgpr20_sgpr21
                                        ; implicit-def: $sgpr24
                                        ; implicit-def: $sgpr6_sgpr7
                                        ; implicit-def: $sgpr8_sgpr9
                                        ; implicit-def: $sgpr12_sgpr13
                                        ; implicit-def: $sgpr14_sgpr15
                                        ; implicit-def: $sgpr16_sgpr17
                                        ; implicit-def: $sgpr18_sgpr19
	s_delay_alu instid0(SALU_CYCLE_1)
	s_cmp_eq_u64 s[10:11], 0
	s_mov_b32 s10, -1
	s_cbranch_scc0 .LBB68_2
; %bb.5:                                ;   in Loop: Header=BB68_3 Depth=1
	s_add_u32 s6, s2, -6
	s_mov_b32 s27, -1
	s_lshl_b64 s[8:9], 1, s6
	s_mov_b32 s26, 0
	s_and_b32 s10, s8, 0x7fffe
                                        ; implicit-def: $sgpr20_sgpr21
                                        ; implicit-def: $sgpr24
                                        ; implicit-def: $sgpr8_sgpr9
                                        ; implicit-def: $sgpr12_sgpr13
                                        ; implicit-def: $sgpr14_sgpr15
                                        ; implicit-def: $sgpr16_sgpr17
                                        ; implicit-def: $sgpr18_sgpr19
	s_delay_alu instid0(SALU_CYCLE_1)
	s_cmp_eq_u64 s[10:11], 0
	s_mov_b32 s10, -1
	s_cbranch_scc0 .LBB68_2
; %bb.6:                                ;   in Loop: Header=BB68_3 Depth=1
	s_add_u32 s8, s2, -5
	s_mov_b32 s28, -1
	s_lshl_b64 s[12:13], 1, s8
	s_mov_b32 s27, 0
	s_and_b32 s10, s12, 0x7fffe
                                        ; implicit-def: $sgpr20_sgpr21
                                        ; implicit-def: $sgpr24
                                        ; implicit-def: $sgpr12_sgpr13
                                        ; implicit-def: $sgpr14_sgpr15
                                        ; implicit-def: $sgpr16_sgpr17
                                        ; implicit-def: $sgpr18_sgpr19
	s_delay_alu instid0(SALU_CYCLE_1)
	s_cmp_eq_u64 s[10:11], 0
	s_mov_b32 s10, -1
	s_cbranch_scc0 .LBB68_2
; %bb.7:                                ;   in Loop: Header=BB68_3 Depth=1
	s_add_u32 s12, s2, -4
	s_mov_b32 s29, -1
	s_lshl_b64 s[14:15], 1, s12
	s_mov_b32 s28, 0
	s_and_b32 s10, s14, 0x7fffe
                                        ; implicit-def: $sgpr20_sgpr21
                                        ; implicit-def: $sgpr24
                                        ; implicit-def: $sgpr14_sgpr15
                                        ; implicit-def: $sgpr16_sgpr17
                                        ; implicit-def: $sgpr18_sgpr19
	s_delay_alu instid0(SALU_CYCLE_1)
	s_cmp_eq_u64 s[10:11], 0
	s_mov_b32 s10, -1
	s_cbranch_scc0 .LBB68_2
; %bb.8:                                ;   in Loop: Header=BB68_3 Depth=1
	s_add_u32 s14, s2, -3
	s_mov_b32 s30, -1
	s_lshl_b64 s[16:17], 1, s14
	s_mov_b32 s29, 0
	s_and_b32 s10, s16, 0x7fffe
                                        ; implicit-def: $sgpr20_sgpr21
                                        ; implicit-def: $sgpr24
                                        ; implicit-def: $sgpr16_sgpr17
                                        ; implicit-def: $sgpr18_sgpr19
	s_delay_alu instid0(SALU_CYCLE_1)
	s_cmp_eq_u64 s[10:11], 0
	s_mov_b32 s10, -1
	s_cbranch_scc0 .LBB68_2
; %bb.9:                                ;   in Loop: Header=BB68_3 Depth=1
	s_add_u32 s16, s2, -2
	s_mov_b32 s33, -1
	s_lshl_b64 s[18:19], 1, s16
	s_mov_b32 s30, 0
	s_and_b32 s10, s18, 0x7fffe
                                        ; implicit-def: $sgpr20_sgpr21
                                        ; implicit-def: $sgpr24
                                        ; implicit-def: $sgpr18_sgpr19
	s_delay_alu instid0(SALU_CYCLE_1)
	s_cmp_eq_u64 s[10:11], 0
	s_mov_b32 s10, -1
	s_cbranch_scc0 .LBB68_2
; %bb.10:                               ;   in Loop: Header=BB68_3 Depth=1
	s_add_u32 s18, s2, -1
	s_mov_b32 s34, -1
	s_lshl_b64 s[20:21], 1, s18
	s_mov_b32 s33, 0
	s_and_b32 s10, s20, 0x7fffe
                                        ; implicit-def: $sgpr20_sgpr21
                                        ; implicit-def: $sgpr24
	s_delay_alu instid0(SALU_CYCLE_1)
	s_cmp_eq_u64 s[10:11], 0
	s_mov_b32 s10, -1
	s_cbranch_scc0 .LBB68_2
; %bb.11:                               ;   in Loop: Header=BB68_3 Depth=1
	s_mov_b32 s31, -1
	s_cmp_lg_u32 s2, 64
                                        ; implicit-def: $sgpr20_sgpr21
                                        ; implicit-def: $sgpr24
	s_cbranch_scc0 .LBB68_1
; %bb.12:                               ;   in Loop: Header=BB68_3 Depth=1
	s_lshl_b64 s[20:21], 1, s2
	s_add_i32 s24, s23, 8
	s_and_b32 s10, s20, 0x7fffe
	s_mov_b32 s31, 0
	s_cmp_lg_u64 s[10:11], 0
	s_cselect_b32 s10, -1, 0
	s_add_u32 s20, s2, 9
	s_addc_u32 s21, s3, 0
	s_add_i32 s23, s23, 9
	s_branch .LBB68_1
.LBB68_13:
	s_and_b32 vcc_lo, exec_lo, s25
	s_mov_b32 s3, -1
	s_cbranch_vccnz .LBB68_49
; %bb.14:
	s_xor_b32 s3, s26, -1
	s_delay_alu instid0(SALU_CYCLE_1)
	s_and_not1_b32 vcc_lo, exec_lo, s3
	s_cbranch_vccnz .LBB68_24
; %bb.15:
	s_xor_b32 s3, s27, -1
	s_delay_alu instid0(SALU_CYCLE_1)
	s_and_not1_b32 vcc_lo, exec_lo, s3
	;; [unrolled: 5-line block ×7, first 2 shown]
	s_cbranch_vccnz .LBB68_30
; %bb.21:
	s_and_b32 vcc_lo, exec_lo, s31
	s_cbranch_vccz .LBB68_23
; %bb.22:
	s_mov_b32 s24, s18
.LBB68_23:
	s_mov_b32 s3, 0
	s_branch .LBB68_31
.LBB68_24:
                                        ; implicit-def: $sgpr24
	s_branch .LBB68_47
.LBB68_25:
                                        ; implicit-def: $sgpr24
	s_branch .LBB68_45
.LBB68_26:
                                        ; implicit-def: $sgpr24
	s_branch .LBB68_43
.LBB68_27:
	s_mov_b32 s3, -1
                                        ; implicit-def: $sgpr24
	s_branch .LBB68_40
.LBB68_28:
	s_mov_b32 s3, -1
                                        ; implicit-def: $sgpr24
	s_branch .LBB68_37
.LBB68_29:
	s_mov_b32 s3, -1
                                        ; implicit-def: $sgpr24
	s_branch .LBB68_34
.LBB68_30:
	s_mov_b32 s3, -1
                                        ; implicit-def: $sgpr24
.LBB68_31:
	s_delay_alu instid0(SALU_CYCLE_1)
	s_and_not1_b32 vcc_lo, exec_lo, s3
	s_cbranch_vccnz .LBB68_33
; %bb.32:
	s_mov_b32 s24, s16
.LBB68_33:
	s_mov_b32 s3, 0
.LBB68_34:
	s_delay_alu instid0(SALU_CYCLE_1)
	s_and_not1_b32 vcc_lo, exec_lo, s3
	s_cbranch_vccnz .LBB68_36
; %bb.35:
	s_mov_b32 s24, s14
.LBB68_36:
	s_mov_b32 s3, 0
.LBB68_37:
	s_delay_alu instid0(SALU_CYCLE_1)
	s_and_not1_b32 vcc_lo, exec_lo, s3
	s_cbranch_vccnz .LBB68_39
; %bb.38:
	s_mov_b32 s24, s12
.LBB68_39:
	s_mov_b32 s3, 0
.LBB68_40:
	s_delay_alu instid0(SALU_CYCLE_1)
	s_and_not1_b32 vcc_lo, exec_lo, s3
	s_cbranch_vccnz .LBB68_42
; %bb.41:
	s_mov_b32 s24, s8
.LBB68_42:
	s_cbranch_execnz .LBB68_44
.LBB68_43:
	s_mov_b32 s24, s6
.LBB68_44:
	s_cbranch_execnz .LBB68_46
.LBB68_45:
	s_mov_b32 s24, s4
.LBB68_46:
	s_cbranch_execnz .LBB68_48
.LBB68_47:
	s_mov_b32 s24, s22
.LBB68_48:
	s_mov_b32 s3, 0
.LBB68_49:
	s_delay_alu instid0(SALU_CYCLE_1)
	s_and_not1_b32 vcc_lo, exec_lo, s3
	s_cbranch_vccnz .LBB68_51
; %bb.50:
	s_add_i32 s24, s2, -9
.LBB68_51:
	s_load_b64 s[0:1], s[0:1], 0x0
	s_cmp_gt_u32 s24, 62
	s_cselect_b32 s2, -1, 0
	s_delay_alu instid0(SALU_CYCLE_1)
	v_cndmask_b32_e64 v1, 0, 1, s2
	s_waitcnt lgkmcnt(0)
	global_store_b8 v0, v1, s[0:1]
	s_nop 0
	s_sendmsg sendmsg(MSG_DEALLOC_VGPRS)
	s_endpgm
	.section	.rodata,"a",@progbits
	.p2align	6, 0x0
	.amdhsa_kernel _Z21device_test_warp_maskILj19EEvP10TestStatus
		.amdhsa_group_segment_fixed_size 0
		.amdhsa_private_segment_fixed_size 0
		.amdhsa_kernarg_size 8
		.amdhsa_user_sgpr_count 15
		.amdhsa_user_sgpr_dispatch_ptr 0
		.amdhsa_user_sgpr_queue_ptr 0
		.amdhsa_user_sgpr_kernarg_segment_ptr 1
		.amdhsa_user_sgpr_dispatch_id 0
		.amdhsa_user_sgpr_private_segment_size 0
		.amdhsa_wavefront_size32 1
		.amdhsa_uses_dynamic_stack 0
		.amdhsa_enable_private_segment 0
		.amdhsa_system_sgpr_workgroup_id_x 1
		.amdhsa_system_sgpr_workgroup_id_y 0
		.amdhsa_system_sgpr_workgroup_id_z 0
		.amdhsa_system_sgpr_workgroup_info 0
		.amdhsa_system_vgpr_workitem_id 0
		.amdhsa_next_free_vgpr 2
		.amdhsa_next_free_sgpr 35
		.amdhsa_reserve_vcc 1
		.amdhsa_float_round_mode_32 0
		.amdhsa_float_round_mode_16_64 0
		.amdhsa_float_denorm_mode_32 3
		.amdhsa_float_denorm_mode_16_64 3
		.amdhsa_dx10_clamp 1
		.amdhsa_ieee_mode 1
		.amdhsa_fp16_overflow 0
		.amdhsa_workgroup_processor_mode 1
		.amdhsa_memory_ordered 1
		.amdhsa_forward_progress 0
		.amdhsa_shared_vgpr_count 0
		.amdhsa_exception_fp_ieee_invalid_op 0
		.amdhsa_exception_fp_denorm_src 0
		.amdhsa_exception_fp_ieee_div_zero 0
		.amdhsa_exception_fp_ieee_overflow 0
		.amdhsa_exception_fp_ieee_underflow 0
		.amdhsa_exception_fp_ieee_inexact 0
		.amdhsa_exception_int_div_zero 0
	.end_amdhsa_kernel
	.section	.text._Z21device_test_warp_maskILj19EEvP10TestStatus,"axG",@progbits,_Z21device_test_warp_maskILj19EEvP10TestStatus,comdat
.Lfunc_end68:
	.size	_Z21device_test_warp_maskILj19EEvP10TestStatus, .Lfunc_end68-_Z21device_test_warp_maskILj19EEvP10TestStatus
                                        ; -- End function
	.section	.AMDGPU.csdata,"",@progbits
; Kernel info:
; codeLenInByte = 788
; NumSgprs: 37
; NumVgprs: 2
; ScratchSize: 0
; MemoryBound: 0
; FloatMode: 240
; IeeeMode: 1
; LDSByteSize: 0 bytes/workgroup (compile time only)
; SGPRBlocks: 4
; VGPRBlocks: 0
; NumSGPRsForWavesPerEU: 37
; NumVGPRsForWavesPerEU: 2
; Occupancy: 16
; WaveLimiterHint : 0
; COMPUTE_PGM_RSRC2:SCRATCH_EN: 0
; COMPUTE_PGM_RSRC2:USER_SGPR: 15
; COMPUTE_PGM_RSRC2:TRAP_HANDLER: 0
; COMPUTE_PGM_RSRC2:TGID_X_EN: 1
; COMPUTE_PGM_RSRC2:TGID_Y_EN: 0
; COMPUTE_PGM_RSRC2:TGID_Z_EN: 0
; COMPUTE_PGM_RSRC2:TIDIG_COMP_CNT: 0
	.section	.text._Z21device_test_warp_maskILj20EEvP10TestStatus,"axG",@progbits,_Z21device_test_warp_maskILj20EEvP10TestStatus,comdat
	.protected	_Z21device_test_warp_maskILj20EEvP10TestStatus ; -- Begin function _Z21device_test_warp_maskILj20EEvP10TestStatus
	.globl	_Z21device_test_warp_maskILj20EEvP10TestStatus
	.p2align	8
	.type	_Z21device_test_warp_maskILj20EEvP10TestStatus,@function
_Z21device_test_warp_maskILj20EEvP10TestStatus: ; @_Z21device_test_warp_maskILj20EEvP10TestStatus
; %bb.0:
	s_mov_b32 s27, 20
	s_mov_b64 s[24:25], 31
	s_mov_b32 s13, 0
	s_branch .LBB69_3
.LBB69_1:                               ;   in Loop: Header=BB69_3 Depth=1
	s_mov_b32 s40, 0
.LBB69_2:                               ;   in Loop: Header=BB69_3 Depth=1
	s_and_b32 vcc_lo, exec_lo, s12
	s_cbranch_vccnz .LBB69_15
.LBB69_3:                               ; =>This Inner Loop Header: Depth=1
	s_mov_b64 s[2:3], s[24:25]
	s_mov_b32 s28, -1
	s_add_u32 s26, s2, -10
	s_mov_b32 s36, 0
	s_lshl_b64 s[4:5], 1, s26
	s_mov_b32 s40, 0
	s_and_b32 s12, s4, 0xffffe
	s_mov_b32 s39, 0
	s_cmp_lg_u64 s[12:13], 0
	s_mov_b32 s38, 0
	s_mov_b32 s37, 0
	;; [unrolled: 1-line block ×7, first 2 shown]
	s_mov_b32 s12, -1
                                        ; implicit-def: $sgpr24_sgpr25
                                        ; implicit-def: $sgpr30
                                        ; implicit-def: $sgpr4_sgpr5
                                        ; implicit-def: $sgpr6_sgpr7
                                        ; implicit-def: $sgpr8_sgpr9
                                        ; implicit-def: $sgpr10_sgpr11
                                        ; implicit-def: $sgpr14_sgpr15
                                        ; implicit-def: $sgpr16_sgpr17
                                        ; implicit-def: $sgpr18_sgpr19
                                        ; implicit-def: $sgpr20_sgpr21
                                        ; implicit-def: $sgpr22_sgpr23
	s_cbranch_scc1 .LBB69_2
; %bb.4:                                ;   in Loop: Header=BB69_3 Depth=1
	s_add_u32 s4, s2, -9
	s_mov_b32 s29, -1
	s_lshl_b64 s[6:7], 1, s4
	s_mov_b32 s28, 0
	s_and_b32 s12, s6, 0xffffe
                                        ; implicit-def: $sgpr24_sgpr25
                                        ; implicit-def: $sgpr30
                                        ; implicit-def: $sgpr6_sgpr7
                                        ; implicit-def: $sgpr8_sgpr9
                                        ; implicit-def: $sgpr10_sgpr11
                                        ; implicit-def: $sgpr14_sgpr15
                                        ; implicit-def: $sgpr16_sgpr17
                                        ; implicit-def: $sgpr18_sgpr19
                                        ; implicit-def: $sgpr20_sgpr21
                                        ; implicit-def: $sgpr22_sgpr23
	s_delay_alu instid0(SALU_CYCLE_1)
	s_cmp_eq_u64 s[12:13], 0
	s_mov_b32 s12, -1
	s_cbranch_scc0 .LBB69_2
; %bb.5:                                ;   in Loop: Header=BB69_3 Depth=1
	s_add_u32 s6, s2, -8
	s_mov_b32 s31, -1
	s_lshl_b64 s[8:9], 1, s6
	s_mov_b32 s29, 0
	s_and_b32 s12, s8, 0xffffe
                                        ; implicit-def: $sgpr24_sgpr25
                                        ; implicit-def: $sgpr30
                                        ; implicit-def: $sgpr8_sgpr9
                                        ; implicit-def: $sgpr10_sgpr11
                                        ; implicit-def: $sgpr14_sgpr15
                                        ; implicit-def: $sgpr16_sgpr17
                                        ; implicit-def: $sgpr18_sgpr19
                                        ; implicit-def: $sgpr20_sgpr21
                                        ; implicit-def: $sgpr22_sgpr23
	s_delay_alu instid0(SALU_CYCLE_1)
	s_cmp_eq_u64 s[12:13], 0
	s_mov_b32 s12, -1
	s_cbranch_scc0 .LBB69_2
; %bb.6:                                ;   in Loop: Header=BB69_3 Depth=1
	s_add_u32 s8, s2, -7
	s_mov_b32 s33, -1
	s_lshl_b64 s[10:11], 1, s8
	s_mov_b32 s31, 0
	s_and_b32 s12, s10, 0xffffe
                                        ; implicit-def: $sgpr24_sgpr25
                                        ; implicit-def: $sgpr30
                                        ; implicit-def: $sgpr10_sgpr11
                                        ; implicit-def: $sgpr14_sgpr15
                                        ; implicit-def: $sgpr16_sgpr17
                                        ; implicit-def: $sgpr18_sgpr19
                                        ; implicit-def: $sgpr20_sgpr21
                                        ; implicit-def: $sgpr22_sgpr23
	s_delay_alu instid0(SALU_CYCLE_1)
	s_cmp_eq_u64 s[12:13], 0
	s_mov_b32 s12, -1
	s_cbranch_scc0 .LBB69_2
; %bb.7:                                ;   in Loop: Header=BB69_3 Depth=1
	s_add_u32 s10, s2, -6
	s_mov_b32 s34, -1
	s_lshl_b64 s[14:15], 1, s10
	s_mov_b32 s33, 0
	s_and_b32 s12, s14, 0xffffe
                                        ; implicit-def: $sgpr24_sgpr25
                                        ; implicit-def: $sgpr30
                                        ; implicit-def: $sgpr14_sgpr15
                                        ; implicit-def: $sgpr16_sgpr17
                                        ; implicit-def: $sgpr18_sgpr19
                                        ; implicit-def: $sgpr20_sgpr21
                                        ; implicit-def: $sgpr22_sgpr23
	s_delay_alu instid0(SALU_CYCLE_1)
	s_cmp_eq_u64 s[12:13], 0
	s_mov_b32 s12, -1
	s_cbranch_scc0 .LBB69_2
; %bb.8:                                ;   in Loop: Header=BB69_3 Depth=1
	s_add_u32 s14, s2, -5
	s_mov_b32 s35, -1
	s_lshl_b64 s[16:17], 1, s14
	s_mov_b32 s34, 0
	s_and_b32 s12, s16, 0xffffe
                                        ; implicit-def: $sgpr24_sgpr25
                                        ; implicit-def: $sgpr30
                                        ; implicit-def: $sgpr16_sgpr17
                                        ; implicit-def: $sgpr18_sgpr19
                                        ; implicit-def: $sgpr20_sgpr21
                                        ; implicit-def: $sgpr22_sgpr23
	s_delay_alu instid0(SALU_CYCLE_1)
	s_cmp_eq_u64 s[12:13], 0
	s_mov_b32 s12, -1
	s_cbranch_scc0 .LBB69_2
; %bb.9:                                ;   in Loop: Header=BB69_3 Depth=1
	s_add_u32 s16, s2, -4
	s_mov_b32 s37, -1
	s_lshl_b64 s[18:19], 1, s16
	s_mov_b32 s35, 0
	s_and_b32 s12, s18, 0xffffe
                                        ; implicit-def: $sgpr24_sgpr25
                                        ; implicit-def: $sgpr30
                                        ; implicit-def: $sgpr18_sgpr19
                                        ; implicit-def: $sgpr20_sgpr21
                                        ; implicit-def: $sgpr22_sgpr23
	s_delay_alu instid0(SALU_CYCLE_1)
	s_cmp_eq_u64 s[12:13], 0
	s_mov_b32 s12, -1
	s_cbranch_scc0 .LBB69_2
; %bb.10:                               ;   in Loop: Header=BB69_3 Depth=1
	s_add_u32 s18, s2, -3
	s_mov_b32 s38, -1
	s_lshl_b64 s[20:21], 1, s18
	s_mov_b32 s37, 0
	s_and_b32 s12, s20, 0xffffe
                                        ; implicit-def: $sgpr24_sgpr25
                                        ; implicit-def: $sgpr30
                                        ; implicit-def: $sgpr20_sgpr21
                                        ; implicit-def: $sgpr22_sgpr23
	s_delay_alu instid0(SALU_CYCLE_1)
	s_cmp_eq_u64 s[12:13], 0
	s_mov_b32 s12, -1
	s_cbranch_scc0 .LBB69_2
; %bb.11:                               ;   in Loop: Header=BB69_3 Depth=1
	s_add_u32 s20, s2, -2
	s_mov_b32 s39, -1
	s_lshl_b64 s[22:23], 1, s20
	s_mov_b32 s38, 0
	s_and_b32 s12, s22, 0xffffe
                                        ; implicit-def: $sgpr24_sgpr25
                                        ; implicit-def: $sgpr30
                                        ; implicit-def: $sgpr22_sgpr23
	s_delay_alu instid0(SALU_CYCLE_1)
	s_cmp_eq_u64 s[12:13], 0
	s_mov_b32 s12, -1
	s_cbranch_scc0 .LBB69_2
; %bb.12:                               ;   in Loop: Header=BB69_3 Depth=1
	s_add_u32 s22, s2, -1
	s_mov_b32 s40, -1
	s_lshl_b64 s[24:25], 1, s22
	s_mov_b32 s39, 0
	s_and_b32 s12, s24, 0xffffe
                                        ; implicit-def: $sgpr24_sgpr25
                                        ; implicit-def: $sgpr30
	s_delay_alu instid0(SALU_CYCLE_1)
	s_cmp_eq_u64 s[12:13], 0
	s_mov_b32 s12, -1
	s_cbranch_scc0 .LBB69_2
; %bb.13:                               ;   in Loop: Header=BB69_3 Depth=1
	s_mov_b32 s36, -1
	s_cmp_lg_u32 s2, 64
                                        ; implicit-def: $sgpr24_sgpr25
                                        ; implicit-def: $sgpr30
	s_cbranch_scc0 .LBB69_1
; %bb.14:                               ;   in Loop: Header=BB69_3 Depth=1
	s_lshl_b64 s[24:25], 1, s2
	s_add_i32 s30, s27, 10
	s_and_b32 s12, s24, 0xffffe
	s_mov_b32 s36, 0
	s_cmp_lg_u64 s[12:13], 0
	s_cselect_b32 s12, -1, 0
	s_add_u32 s24, s2, 11
	s_addc_u32 s25, s3, 0
	s_add_i32 s27, s27, 11
	s_branch .LBB69_1
.LBB69_15:
	s_and_b32 vcc_lo, exec_lo, s28
	s_mov_b32 s3, -1
	s_cbranch_vccnz .LBB69_61
; %bb.16:
	s_xor_b32 s3, s29, -1
	s_delay_alu instid0(SALU_CYCLE_1)
	s_and_not1_b32 vcc_lo, exec_lo, s3
	s_cbranch_vccnz .LBB69_28
; %bb.17:
	s_xor_b32 s3, s31, -1
	s_delay_alu instid0(SALU_CYCLE_1)
	s_and_not1_b32 vcc_lo, exec_lo, s3
	;; [unrolled: 5-line block ×9, first 2 shown]
	s_cbranch_vccnz .LBB69_36
; %bb.25:
	s_and_b32 vcc_lo, exec_lo, s36
	s_cbranch_vccz .LBB69_27
; %bb.26:
	s_mov_b32 s30, s22
.LBB69_27:
	s_mov_b32 s3, 0
	s_branch .LBB69_37
.LBB69_28:
                                        ; implicit-def: $sgpr30
	s_branch .LBB69_59
.LBB69_29:
                                        ; implicit-def: $sgpr30
	s_branch .LBB69_57
.LBB69_30:
                                        ; implicit-def: $sgpr30
	s_branch .LBB69_55
.LBB69_31:
	s_mov_b32 s3, -1
                                        ; implicit-def: $sgpr30
	s_branch .LBB69_52
.LBB69_32:
	s_mov_b32 s3, -1
                                        ; implicit-def: $sgpr30
	s_branch .LBB69_49
.LBB69_33:
	s_mov_b32 s3, -1
                                        ; implicit-def: $sgpr30
	s_branch .LBB69_46
.LBB69_34:
	s_mov_b32 s3, -1
                                        ; implicit-def: $sgpr30
	s_branch .LBB69_43
.LBB69_35:
	s_mov_b32 s3, -1
                                        ; implicit-def: $sgpr30
	s_branch .LBB69_40
.LBB69_36:
	s_mov_b32 s3, -1
                                        ; implicit-def: $sgpr30
.LBB69_37:
	s_delay_alu instid0(SALU_CYCLE_1)
	s_and_not1_b32 vcc_lo, exec_lo, s3
	s_cbranch_vccnz .LBB69_39
; %bb.38:
	s_mov_b32 s30, s20
.LBB69_39:
	s_mov_b32 s3, 0
.LBB69_40:
	s_delay_alu instid0(SALU_CYCLE_1)
	s_and_not1_b32 vcc_lo, exec_lo, s3
	s_cbranch_vccnz .LBB69_42
; %bb.41:
	s_mov_b32 s30, s18
.LBB69_42:
	s_mov_b32 s3, 0
.LBB69_43:
	s_delay_alu instid0(SALU_CYCLE_1)
	s_and_not1_b32 vcc_lo, exec_lo, s3
	s_cbranch_vccnz .LBB69_45
; %bb.44:
	s_mov_b32 s30, s16
.LBB69_45:
	s_mov_b32 s3, 0
.LBB69_46:
	s_delay_alu instid0(SALU_CYCLE_1)
	s_and_not1_b32 vcc_lo, exec_lo, s3
	s_cbranch_vccnz .LBB69_48
; %bb.47:
	s_mov_b32 s30, s14
.LBB69_48:
	s_mov_b32 s3, 0
.LBB69_49:
	s_delay_alu instid0(SALU_CYCLE_1)
	s_and_not1_b32 vcc_lo, exec_lo, s3
	s_cbranch_vccnz .LBB69_51
; %bb.50:
	s_mov_b32 s30, s10
.LBB69_51:
	s_mov_b32 s3, 0
.LBB69_52:
	s_delay_alu instid0(SALU_CYCLE_1)
	s_and_not1_b32 vcc_lo, exec_lo, s3
	s_cbranch_vccnz .LBB69_54
; %bb.53:
	s_mov_b32 s30, s8
.LBB69_54:
	s_cbranch_execnz .LBB69_56
.LBB69_55:
	s_mov_b32 s30, s6
.LBB69_56:
	s_cbranch_execnz .LBB69_58
.LBB69_57:
	s_mov_b32 s30, s4
.LBB69_58:
	s_cbranch_execnz .LBB69_60
.LBB69_59:
	s_mov_b32 s30, s26
.LBB69_60:
	s_mov_b32 s3, 0
.LBB69_61:
	s_delay_alu instid0(SALU_CYCLE_1)
	s_and_not1_b32 vcc_lo, exec_lo, s3
	s_cbranch_vccnz .LBB69_63
; %bb.62:
	s_add_i32 s30, s2, -11
.LBB69_63:
	s_load_b64 s[0:1], s[0:1], 0x0
	s_cmp_gt_u32 s30, 62
	s_cselect_b32 s2, -1, 0
	s_delay_alu instid0(SALU_CYCLE_1)
	v_cndmask_b32_e64 v1, 0, 1, s2
	s_waitcnt lgkmcnt(0)
	global_store_b8 v0, v1, s[0:1]
	s_nop 0
	s_sendmsg sendmsg(MSG_DEALLOC_VGPRS)
	s_endpgm
	.section	.rodata,"a",@progbits
	.p2align	6, 0x0
	.amdhsa_kernel _Z21device_test_warp_maskILj20EEvP10TestStatus
		.amdhsa_group_segment_fixed_size 0
		.amdhsa_private_segment_fixed_size 0
		.amdhsa_kernarg_size 8
		.amdhsa_user_sgpr_count 15
		.amdhsa_user_sgpr_dispatch_ptr 0
		.amdhsa_user_sgpr_queue_ptr 0
		.amdhsa_user_sgpr_kernarg_segment_ptr 1
		.amdhsa_user_sgpr_dispatch_id 0
		.amdhsa_user_sgpr_private_segment_size 0
		.amdhsa_wavefront_size32 1
		.amdhsa_uses_dynamic_stack 0
		.amdhsa_enable_private_segment 0
		.amdhsa_system_sgpr_workgroup_id_x 1
		.amdhsa_system_sgpr_workgroup_id_y 0
		.amdhsa_system_sgpr_workgroup_id_z 0
		.amdhsa_system_sgpr_workgroup_info 0
		.amdhsa_system_vgpr_workitem_id 0
		.amdhsa_next_free_vgpr 2
		.amdhsa_next_free_sgpr 41
		.amdhsa_reserve_vcc 1
		.amdhsa_float_round_mode_32 0
		.amdhsa_float_round_mode_16_64 0
		.amdhsa_float_denorm_mode_32 3
		.amdhsa_float_denorm_mode_16_64 3
		.amdhsa_dx10_clamp 1
		.amdhsa_ieee_mode 1
		.amdhsa_fp16_overflow 0
		.amdhsa_workgroup_processor_mode 1
		.amdhsa_memory_ordered 1
		.amdhsa_forward_progress 0
		.amdhsa_shared_vgpr_count 0
		.amdhsa_exception_fp_ieee_invalid_op 0
		.amdhsa_exception_fp_denorm_src 0
		.amdhsa_exception_fp_ieee_div_zero 0
		.amdhsa_exception_fp_ieee_overflow 0
		.amdhsa_exception_fp_ieee_underflow 0
		.amdhsa_exception_fp_ieee_inexact 0
		.amdhsa_exception_int_div_zero 0
	.end_amdhsa_kernel
	.section	.text._Z21device_test_warp_maskILj20EEvP10TestStatus,"axG",@progbits,_Z21device_test_warp_maskILj20EEvP10TestStatus,comdat
.Lfunc_end69:
	.size	_Z21device_test_warp_maskILj20EEvP10TestStatus, .Lfunc_end69-_Z21device_test_warp_maskILj20EEvP10TestStatus
                                        ; -- End function
	.section	.AMDGPU.csdata,"",@progbits
; Kernel info:
; codeLenInByte = 964
; NumSgprs: 43
; NumVgprs: 2
; ScratchSize: 0
; MemoryBound: 0
; FloatMode: 240
; IeeeMode: 1
; LDSByteSize: 0 bytes/workgroup (compile time only)
; SGPRBlocks: 5
; VGPRBlocks: 0
; NumSGPRsForWavesPerEU: 43
; NumVGPRsForWavesPerEU: 2
; Occupancy: 16
; WaveLimiterHint : 0
; COMPUTE_PGM_RSRC2:SCRATCH_EN: 0
; COMPUTE_PGM_RSRC2:USER_SGPR: 15
; COMPUTE_PGM_RSRC2:TRAP_HANDLER: 0
; COMPUTE_PGM_RSRC2:TGID_X_EN: 1
; COMPUTE_PGM_RSRC2:TGID_Y_EN: 0
; COMPUTE_PGM_RSRC2:TGID_Z_EN: 0
; COMPUTE_PGM_RSRC2:TIDIG_COMP_CNT: 0
	.section	.text._Z21device_test_warp_maskILj21EEvP10TestStatus,"axG",@progbits,_Z21device_test_warp_maskILj21EEvP10TestStatus,comdat
	.protected	_Z21device_test_warp_maskILj21EEvP10TestStatus ; -- Begin function _Z21device_test_warp_maskILj21EEvP10TestStatus
	.globl	_Z21device_test_warp_maskILj21EEvP10TestStatus
	.p2align	8
	.type	_Z21device_test_warp_maskILj21EEvP10TestStatus,@function
_Z21device_test_warp_maskILj21EEvP10TestStatus: ; @_Z21device_test_warp_maskILj21EEvP10TestStatus
; %bb.0:
	s_mov_b32 s19, 21
	s_mov_b64 s[16:17], 29
	s_mov_b32 s9, 0
	s_branch .LBB70_3
.LBB70_1:                               ;   in Loop: Header=BB70_3 Depth=1
	s_add_i32 s8, s19, 2
	s_mov_b32 s22, -1
                                        ; implicit-def: $sgpr19
                                        ; implicit-def: $sgpr16_sgpr17
                                        ; implicit-def: $sgpr6_sgpr7
                                        ; implicit-def: $sgpr10_sgpr11
                                        ; implicit-def: $sgpr12_sgpr13
                                        ; implicit-def: $sgpr14_sgpr15
.LBB70_2:                               ;   in Loop: Header=BB70_3 Depth=1
	s_and_b32 vcc_lo, exec_lo, s28
	s_cbranch_vccnz .LBB70_14
.LBB70_3:                               ; =>This Inner Loop Header: Depth=1
	s_mov_b64 s[2:3], s[16:17]
	s_mov_b32 s26, 0
	s_add_u32 s18, s2, -7
	s_mov_b32 s27, 0
	s_lshl_b64 s[4:5], 1, s18
	s_mov_b32 s25, 0
	s_and_b32 s8, s4, 0x1ffffe
	s_mov_b32 s24, 0
	s_cmp_lg_u64 s[8:9], 0
	s_mov_b32 s23, 0
	s_mov_b32 s22, 0
	;; [unrolled: 1-line block ×3, first 2 shown]
	s_mov_b32 s21, -1
	s_mov_b32 s28, -1
                                        ; implicit-def: $sgpr16_sgpr17
                                        ; implicit-def: $sgpr8
                                        ; implicit-def: $sgpr4_sgpr5
                                        ; implicit-def: $sgpr6_sgpr7
                                        ; implicit-def: $sgpr10_sgpr11
                                        ; implicit-def: $sgpr12_sgpr13
                                        ; implicit-def: $sgpr14_sgpr15
	s_cbranch_scc1 .LBB70_2
; %bb.4:                                ;   in Loop: Header=BB70_3 Depth=1
	s_add_u32 s4, s2, -6
	s_mov_b32 s20, -1
	s_lshl_b64 s[6:7], 1, s4
	s_mov_b32 s21, 0
	s_and_b32 s8, s6, 0x1ffffe
                                        ; implicit-def: $sgpr16_sgpr17
                                        ; implicit-def: $sgpr6_sgpr7
                                        ; implicit-def: $sgpr10_sgpr11
                                        ; implicit-def: $sgpr12_sgpr13
                                        ; implicit-def: $sgpr14_sgpr15
	s_delay_alu instid0(SALU_CYCLE_1)
	s_cmp_eq_u64 s[8:9], 0
                                        ; implicit-def: $sgpr8
	s_cbranch_scc0 .LBB70_2
; %bb.5:                                ;   in Loop: Header=BB70_3 Depth=1
	s_cmpk_lg_i32 s2, 0x45
	s_mov_b32 s20, 0
	s_cbranch_scc0 .LBB70_1
; %bb.6:                                ;   in Loop: Header=BB70_3 Depth=1
	s_add_u32 s6, s2, -5
	s_mov_b32 s23, -1
	s_lshl_b64 s[10:11], 1, s6
                                        ; implicit-def: $sgpr16_sgpr17
                                        ; implicit-def: $sgpr12_sgpr13
                                        ; implicit-def: $sgpr14_sgpr15
	s_delay_alu instid0(SALU_CYCLE_1) | instskip(NEXT) | instid1(SALU_CYCLE_1)
	s_and_b32 s8, s10, 0x1ffffe
                                        ; implicit-def: $sgpr10_sgpr11
	s_cmp_eq_u64 s[8:9], 0
	s_cbranch_scc0 .LBB70_10
; %bb.7:                                ;   in Loop: Header=BB70_3 Depth=1
	s_add_u32 s10, s2, -4
	s_mov_b32 s24, -1
	s_lshl_b64 s[12:13], 1, s10
	s_mov_b32 s23, 0
	s_and_b32 s8, s12, 0x1ffffe
                                        ; implicit-def: $sgpr16_sgpr17
                                        ; implicit-def: $sgpr12_sgpr13
                                        ; implicit-def: $sgpr14_sgpr15
	s_delay_alu instid0(SALU_CYCLE_1)
	s_cmp_eq_u64 s[8:9], 0
	s_cbranch_scc0 .LBB70_10
; %bb.8:                                ;   in Loop: Header=BB70_3 Depth=1
	s_add_u32 s12, s2, -3
	s_mov_b32 s25, -1
	s_lshl_b64 s[14:15], 1, s12
	s_mov_b32 s24, 0
	s_and_b32 s8, s14, 0x1ffffe
                                        ; implicit-def: $sgpr16_sgpr17
                                        ; implicit-def: $sgpr14_sgpr15
	s_delay_alu instid0(SALU_CYCLE_1)
	s_cmp_eq_u64 s[8:9], 0
	s_cbranch_scc0 .LBB70_10
; %bb.9:                                ;   in Loop: Header=BB70_3 Depth=1
	s_add_u32 s14, s2, -2
	s_mov_b32 s27, -1
	s_lshl_b64 s[16:17], 1, s14
	s_mov_b32 s25, 0
	s_and_b32 s8, s16, 0x1ffffe
                                        ; implicit-def: $sgpr16_sgpr17
	s_delay_alu instid0(SALU_CYCLE_1)
	s_cmp_eq_u64 s[8:9], 0
	s_cbranch_scc1 .LBB70_11
.LBB70_10:                              ;   in Loop: Header=BB70_3 Depth=1
                                        ; implicit-def: $sgpr8
	s_branch .LBB70_2
.LBB70_11:                              ;   in Loop: Header=BB70_3 Depth=1
	s_add_i32 s5, s2, -1
	s_mov_b32 s26, -1
	s_lshl_b64 s[16:17], 1, s5
	s_delay_alu instid0(SALU_CYCLE_1) | instskip(NEXT) | instid1(SALU_CYCLE_1)
	s_and_b32 s8, s16, 0x1ffffe
                                        ; implicit-def: $sgpr16_sgpr17
	s_cmp_eq_u64 s[8:9], 0
	s_cbranch_scc0 .LBB70_13
; %bb.12:                               ;   in Loop: Header=BB70_3 Depth=1
	s_lshl_b64 s[16:17], 1, s2
	s_add_i32 s19, s19, 8
	s_and_b32 s8, s16, 0x1ffffe
	s_mov_b32 s26, 0
	s_cmp_lg_u64 s[8:9], 0
	s_cselect_b32 s28, -1, 0
	s_add_u32 s16, s2, 8
	s_addc_u32 s17, s3, 0
.LBB70_13:                              ;   in Loop: Header=BB70_3 Depth=1
	s_mov_b32 s27, 0
                                        ; implicit-def: $sgpr8
	s_branch .LBB70_2
.LBB70_14:
	s_and_b32 vcc_lo, exec_lo, s21
	s_mov_b32 s3, -1
	s_cbranch_vccnz .LBB70_45
; %bb.15:
	s_xor_b32 s3, s20, -1
	s_delay_alu instid0(SALU_CYCLE_1)
	s_and_not1_b32 vcc_lo, exec_lo, s3
	s_cbranch_vccnz .LBB70_23
; %bb.16:
	s_xor_b32 s3, s22, -1
	s_delay_alu instid0(SALU_CYCLE_1)
	s_and_not1_b32 vcc_lo, exec_lo, s3
	;; [unrolled: 5-line block ×6, first 2 shown]
	s_cbranch_vccnz .LBB70_27
; %bb.21:
	s_xor_b32 s3, s26, -1
	s_delay_alu instid0(SALU_CYCLE_1)
	s_and_b32 vcc_lo, exec_lo, s3
	s_cbranch_vccz .LBB70_28
; %bb.22:
	s_add_i32 s8, s16, -9
	s_mov_b32 s3, 0
	s_branch .LBB70_29
.LBB70_23:
                                        ; implicit-def: $sgpr8
	s_branch .LBB70_43
.LBB70_24:
                                        ; implicit-def: $sgpr8
	s_branch .LBB70_41
.LBB70_25:
	s_mov_b32 s3, -1
                                        ; implicit-def: $sgpr8
	s_branch .LBB70_38
.LBB70_26:
	s_mov_b32 s3, -1
                                        ; implicit-def: $sgpr8
	s_branch .LBB70_35
.LBB70_27:
	s_mov_b32 s3, -1
                                        ; implicit-def: $sgpr8
	s_branch .LBB70_32
.LBB70_28:
	s_mov_b32 s3, -1
                                        ; implicit-def: $sgpr8
.LBB70_29:
	s_delay_alu instid0(SALU_CYCLE_1)
	s_and_not1_b32 vcc_lo, exec_lo, s3
	s_cbranch_vccnz .LBB70_31
; %bb.30:
	s_mov_b32 s8, s14
.LBB70_31:
	s_mov_b32 s3, 0
.LBB70_32:
	s_delay_alu instid0(SALU_CYCLE_1)
	s_and_not1_b32 vcc_lo, exec_lo, s3
	s_cbranch_vccnz .LBB70_34
; %bb.33:
	s_mov_b32 s8, s12
.LBB70_34:
	s_mov_b32 s3, 0
.LBB70_35:
	s_delay_alu instid0(SALU_CYCLE_1)
	s_and_not1_b32 vcc_lo, exec_lo, s3
	s_cbranch_vccnz .LBB70_37
; %bb.36:
	s_mov_b32 s8, s10
.LBB70_37:
	s_mov_b32 s3, 0
.LBB70_38:
	s_delay_alu instid0(SALU_CYCLE_1)
	s_and_not1_b32 vcc_lo, exec_lo, s3
	s_cbranch_vccnz .LBB70_40
; %bb.39:
	s_mov_b32 s8, s6
.LBB70_40:
	s_cbranch_execnz .LBB70_42
.LBB70_41:
	s_mov_b32 s8, s4
.LBB70_42:
	s_cbranch_execnz .LBB70_44
.LBB70_43:
	s_mov_b32 s8, s18
.LBB70_44:
	s_mov_b32 s3, 0
.LBB70_45:
	s_delay_alu instid0(SALU_CYCLE_1)
	s_and_not1_b32 vcc_lo, exec_lo, s3
	s_cbranch_vccnz .LBB70_47
; %bb.46:
	s_add_i32 s8, s2, -8
.LBB70_47:
	s_load_b64 s[0:1], s[0:1], 0x0
	s_cmp_gt_u32 s8, 62
	s_cselect_b32 s2, -1, 0
	s_delay_alu instid0(SALU_CYCLE_1)
	v_cndmask_b32_e64 v1, 0, 1, s2
	s_waitcnt lgkmcnt(0)
	global_store_b8 v0, v1, s[0:1]
	s_nop 0
	s_sendmsg sendmsg(MSG_DEALLOC_VGPRS)
	s_endpgm
	.section	.rodata,"a",@progbits
	.p2align	6, 0x0
	.amdhsa_kernel _Z21device_test_warp_maskILj21EEvP10TestStatus
		.amdhsa_group_segment_fixed_size 0
		.amdhsa_private_segment_fixed_size 0
		.amdhsa_kernarg_size 8
		.amdhsa_user_sgpr_count 15
		.amdhsa_user_sgpr_dispatch_ptr 0
		.amdhsa_user_sgpr_queue_ptr 0
		.amdhsa_user_sgpr_kernarg_segment_ptr 1
		.amdhsa_user_sgpr_dispatch_id 0
		.amdhsa_user_sgpr_private_segment_size 0
		.amdhsa_wavefront_size32 1
		.amdhsa_uses_dynamic_stack 0
		.amdhsa_enable_private_segment 0
		.amdhsa_system_sgpr_workgroup_id_x 1
		.amdhsa_system_sgpr_workgroup_id_y 0
		.amdhsa_system_sgpr_workgroup_id_z 0
		.amdhsa_system_sgpr_workgroup_info 0
		.amdhsa_system_vgpr_workitem_id 0
		.amdhsa_next_free_vgpr 2
		.amdhsa_next_free_sgpr 29
		.amdhsa_reserve_vcc 1
		.amdhsa_float_round_mode_32 0
		.amdhsa_float_round_mode_16_64 0
		.amdhsa_float_denorm_mode_32 3
		.amdhsa_float_denorm_mode_16_64 3
		.amdhsa_dx10_clamp 1
		.amdhsa_ieee_mode 1
		.amdhsa_fp16_overflow 0
		.amdhsa_workgroup_processor_mode 1
		.amdhsa_memory_ordered 1
		.amdhsa_forward_progress 0
		.amdhsa_shared_vgpr_count 0
		.amdhsa_exception_fp_ieee_invalid_op 0
		.amdhsa_exception_fp_denorm_src 0
		.amdhsa_exception_fp_ieee_div_zero 0
		.amdhsa_exception_fp_ieee_overflow 0
		.amdhsa_exception_fp_ieee_underflow 0
		.amdhsa_exception_fp_ieee_inexact 0
		.amdhsa_exception_int_div_zero 0
	.end_amdhsa_kernel
	.section	.text._Z21device_test_warp_maskILj21EEvP10TestStatus,"axG",@progbits,_Z21device_test_warp_maskILj21EEvP10TestStatus,comdat
.Lfunc_end70:
	.size	_Z21device_test_warp_maskILj21EEvP10TestStatus, .Lfunc_end70-_Z21device_test_warp_maskILj21EEvP10TestStatus
                                        ; -- End function
	.section	.AMDGPU.csdata,"",@progbits
; Kernel info:
; codeLenInByte = 700
; NumSgprs: 31
; NumVgprs: 2
; ScratchSize: 0
; MemoryBound: 0
; FloatMode: 240
; IeeeMode: 1
; LDSByteSize: 0 bytes/workgroup (compile time only)
; SGPRBlocks: 3
; VGPRBlocks: 0
; NumSGPRsForWavesPerEU: 31
; NumVGPRsForWavesPerEU: 2
; Occupancy: 16
; WaveLimiterHint : 0
; COMPUTE_PGM_RSRC2:SCRATCH_EN: 0
; COMPUTE_PGM_RSRC2:USER_SGPR: 15
; COMPUTE_PGM_RSRC2:TRAP_HANDLER: 0
; COMPUTE_PGM_RSRC2:TGID_X_EN: 1
; COMPUTE_PGM_RSRC2:TGID_Y_EN: 0
; COMPUTE_PGM_RSRC2:TGID_Z_EN: 0
; COMPUTE_PGM_RSRC2:TIDIG_COMP_CNT: 0
	.section	.text._Z21device_test_warp_maskILj22EEvP10TestStatus,"axG",@progbits,_Z21device_test_warp_maskILj22EEvP10TestStatus,comdat
	.protected	_Z21device_test_warp_maskILj22EEvP10TestStatus ; -- Begin function _Z21device_test_warp_maskILj22EEvP10TestStatus
	.globl	_Z21device_test_warp_maskILj22EEvP10TestStatus
	.p2align	8
	.type	_Z21device_test_warp_maskILj22EEvP10TestStatus,@function
_Z21device_test_warp_maskILj22EEvP10TestStatus: ; @_Z21device_test_warp_maskILj22EEvP10TestStatus
; %bb.0:
	s_mov_b32 s19, 22
	s_mov_b64 s[16:17], 29
	s_mov_b32 s9, 0
	s_branch .LBB71_3
.LBB71_1:                               ;   in Loop: Header=BB71_3 Depth=1
	s_mov_b32 s27, 0
.LBB71_2:                               ;   in Loop: Header=BB71_3 Depth=1
	s_and_b32 vcc_lo, exec_lo, s8
	s_cbranch_vccnz .LBB71_11
.LBB71_3:                               ; =>This Inner Loop Header: Depth=1
	s_mov_b64 s[2:3], s[16:17]
	s_mov_b32 s21, -1
	s_add_u32 s18, s2, -6
	s_mov_b32 s26, 0
	s_lshl_b64 s[4:5], 1, s18
	s_mov_b32 s27, 0
	s_and_b32 s8, s4, 0x3ffffe
	s_mov_b32 s25, 0
	s_cmp_lg_u64 s[8:9], 0
	s_mov_b32 s24, 0
	s_mov_b32 s23, 0
	;; [unrolled: 1-line block ×3, first 2 shown]
	s_mov_b32 s8, -1
                                        ; implicit-def: $sgpr16_sgpr17
                                        ; implicit-def: $sgpr20
                                        ; implicit-def: $sgpr4_sgpr5
                                        ; implicit-def: $sgpr6_sgpr7
                                        ; implicit-def: $sgpr10_sgpr11
                                        ; implicit-def: $sgpr12_sgpr13
                                        ; implicit-def: $sgpr14_sgpr15
	s_cbranch_scc1 .LBB71_2
; %bb.4:                                ;   in Loop: Header=BB71_3 Depth=1
	s_add_u32 s4, s2, -5
	s_mov_b32 s22, -1
	s_lshl_b64 s[6:7], 1, s4
	s_mov_b32 s21, 0
	s_and_b32 s8, s6, 0x3ffffe
                                        ; implicit-def: $sgpr16_sgpr17
                                        ; implicit-def: $sgpr20
                                        ; implicit-def: $sgpr6_sgpr7
                                        ; implicit-def: $sgpr10_sgpr11
                                        ; implicit-def: $sgpr12_sgpr13
                                        ; implicit-def: $sgpr14_sgpr15
	s_delay_alu instid0(SALU_CYCLE_1)
	s_cmp_eq_u64 s[8:9], 0
	s_mov_b32 s8, -1
	s_cbranch_scc0 .LBB71_2
; %bb.5:                                ;   in Loop: Header=BB71_3 Depth=1
	s_add_u32 s6, s2, -4
	s_mov_b32 s23, -1
	s_lshl_b64 s[10:11], 1, s6
	s_mov_b32 s22, 0
	s_and_b32 s8, s10, 0x3ffffe
                                        ; implicit-def: $sgpr16_sgpr17
                                        ; implicit-def: $sgpr20
                                        ; implicit-def: $sgpr10_sgpr11
                                        ; implicit-def: $sgpr12_sgpr13
                                        ; implicit-def: $sgpr14_sgpr15
	s_delay_alu instid0(SALU_CYCLE_1)
	s_cmp_eq_u64 s[8:9], 0
	s_mov_b32 s8, -1
	s_cbranch_scc0 .LBB71_2
; %bb.6:                                ;   in Loop: Header=BB71_3 Depth=1
	s_add_u32 s10, s2, -3
	s_mov_b32 s24, -1
	s_lshl_b64 s[12:13], 1, s10
	s_mov_b32 s23, 0
	s_and_b32 s8, s12, 0x3ffffe
                                        ; implicit-def: $sgpr16_sgpr17
                                        ; implicit-def: $sgpr20
                                        ; implicit-def: $sgpr12_sgpr13
                                        ; implicit-def: $sgpr14_sgpr15
	s_delay_alu instid0(SALU_CYCLE_1)
	s_cmp_eq_u64 s[8:9], 0
	s_mov_b32 s8, -1
	s_cbranch_scc0 .LBB71_2
; %bb.7:                                ;   in Loop: Header=BB71_3 Depth=1
	s_add_u32 s12, s2, -2
	s_mov_b32 s25, -1
	s_lshl_b64 s[14:15], 1, s12
	s_mov_b32 s24, 0
	s_and_b32 s8, s14, 0x3ffffe
                                        ; implicit-def: $sgpr16_sgpr17
                                        ; implicit-def: $sgpr20
                                        ; implicit-def: $sgpr14_sgpr15
	s_delay_alu instid0(SALU_CYCLE_1)
	s_cmp_eq_u64 s[8:9], 0
	s_mov_b32 s8, -1
	s_cbranch_scc0 .LBB71_2
; %bb.8:                                ;   in Loop: Header=BB71_3 Depth=1
	s_add_u32 s14, s2, -1
	s_mov_b32 s27, -1
	s_lshl_b64 s[16:17], 1, s14
	s_mov_b32 s25, 0
	s_and_b32 s8, s16, 0x3ffffe
                                        ; implicit-def: $sgpr16_sgpr17
                                        ; implicit-def: $sgpr20
	s_delay_alu instid0(SALU_CYCLE_1)
	s_cmp_eq_u64 s[8:9], 0
	s_mov_b32 s8, -1
	s_cbranch_scc0 .LBB71_2
; %bb.9:                                ;   in Loop: Header=BB71_3 Depth=1
	s_mov_b32 s26, -1
	s_cmp_lg_u32 s2, 64
                                        ; implicit-def: $sgpr16_sgpr17
                                        ; implicit-def: $sgpr20
	s_cbranch_scc0 .LBB71_1
; %bb.10:                               ;   in Loop: Header=BB71_3 Depth=1
	s_lshl_b64 s[16:17], 1, s2
	s_add_i32 s20, s19, 6
	s_and_b32 s8, s16, 0x3ffffe
	s_mov_b32 s26, 0
	s_cmp_lg_u64 s[8:9], 0
	s_cselect_b32 s8, -1, 0
	s_add_u32 s16, s2, 7
	s_addc_u32 s17, s3, 0
	s_add_i32 s19, s19, 7
	s_branch .LBB71_1
.LBB71_11:
	s_and_b32 vcc_lo, exec_lo, s21
	s_mov_b32 s3, -1
	s_cbranch_vccnz .LBB71_37
; %bb.12:
	s_xor_b32 s3, s22, -1
	s_delay_alu instid0(SALU_CYCLE_1)
	s_and_not1_b32 vcc_lo, exec_lo, s3
	s_cbranch_vccnz .LBB71_20
; %bb.13:
	s_xor_b32 s3, s23, -1
	s_delay_alu instid0(SALU_CYCLE_1)
	s_and_not1_b32 vcc_lo, exec_lo, s3
	;; [unrolled: 5-line block ×5, first 2 shown]
	s_cbranch_vccnz .LBB71_24
; %bb.17:
	s_and_b32 vcc_lo, exec_lo, s26
	s_cbranch_vccz .LBB71_19
; %bb.18:
	s_mov_b32 s20, s14
.LBB71_19:
	s_mov_b32 s3, 0
	s_branch .LBB71_25
.LBB71_20:
                                        ; implicit-def: $sgpr20
	s_branch .LBB71_35
.LBB71_21:
                                        ; implicit-def: $sgpr20
	s_branch .LBB71_33
.LBB71_22:
                                        ; implicit-def: $sgpr20
	s_branch .LBB71_31
.LBB71_23:
	s_mov_b32 s3, -1
                                        ; implicit-def: $sgpr20
	s_branch .LBB71_28
.LBB71_24:
	s_mov_b32 s3, -1
                                        ; implicit-def: $sgpr20
.LBB71_25:
	s_delay_alu instid0(SALU_CYCLE_1)
	s_and_not1_b32 vcc_lo, exec_lo, s3
	s_cbranch_vccnz .LBB71_27
; %bb.26:
	s_mov_b32 s20, s12
.LBB71_27:
	s_mov_b32 s3, 0
.LBB71_28:
	s_delay_alu instid0(SALU_CYCLE_1)
	s_and_not1_b32 vcc_lo, exec_lo, s3
	s_cbranch_vccnz .LBB71_30
; %bb.29:
	s_mov_b32 s20, s10
.LBB71_30:
	s_cbranch_execnz .LBB71_32
.LBB71_31:
	s_mov_b32 s20, s6
.LBB71_32:
	s_cbranch_execnz .LBB71_34
.LBB71_33:
	s_mov_b32 s20, s4
.LBB71_34:
	s_cbranch_execnz .LBB71_36
.LBB71_35:
	s_mov_b32 s20, s18
.LBB71_36:
	s_mov_b32 s3, 0
.LBB71_37:
	s_delay_alu instid0(SALU_CYCLE_1)
	s_and_not1_b32 vcc_lo, exec_lo, s3
	s_cbranch_vccnz .LBB71_39
; %bb.38:
	s_add_i32 s20, s2, -7
.LBB71_39:
	s_load_b64 s[0:1], s[0:1], 0x0
	s_cmp_gt_u32 s20, 62
	s_cselect_b32 s2, -1, 0
	s_delay_alu instid0(SALU_CYCLE_1)
	v_cndmask_b32_e64 v1, 0, 1, s2
	s_waitcnt lgkmcnt(0)
	global_store_b8 v0, v1, s[0:1]
	s_nop 0
	s_sendmsg sendmsg(MSG_DEALLOC_VGPRS)
	s_endpgm
	.section	.rodata,"a",@progbits
	.p2align	6, 0x0
	.amdhsa_kernel _Z21device_test_warp_maskILj22EEvP10TestStatus
		.amdhsa_group_segment_fixed_size 0
		.amdhsa_private_segment_fixed_size 0
		.amdhsa_kernarg_size 8
		.amdhsa_user_sgpr_count 15
		.amdhsa_user_sgpr_dispatch_ptr 0
		.amdhsa_user_sgpr_queue_ptr 0
		.amdhsa_user_sgpr_kernarg_segment_ptr 1
		.amdhsa_user_sgpr_dispatch_id 0
		.amdhsa_user_sgpr_private_segment_size 0
		.amdhsa_wavefront_size32 1
		.amdhsa_uses_dynamic_stack 0
		.amdhsa_enable_private_segment 0
		.amdhsa_system_sgpr_workgroup_id_x 1
		.amdhsa_system_sgpr_workgroup_id_y 0
		.amdhsa_system_sgpr_workgroup_id_z 0
		.amdhsa_system_sgpr_workgroup_info 0
		.amdhsa_system_vgpr_workitem_id 0
		.amdhsa_next_free_vgpr 2
		.amdhsa_next_free_sgpr 28
		.amdhsa_reserve_vcc 1
		.amdhsa_float_round_mode_32 0
		.amdhsa_float_round_mode_16_64 0
		.amdhsa_float_denorm_mode_32 3
		.amdhsa_float_denorm_mode_16_64 3
		.amdhsa_dx10_clamp 1
		.amdhsa_ieee_mode 1
		.amdhsa_fp16_overflow 0
		.amdhsa_workgroup_processor_mode 1
		.amdhsa_memory_ordered 1
		.amdhsa_forward_progress 0
		.amdhsa_shared_vgpr_count 0
		.amdhsa_exception_fp_ieee_invalid_op 0
		.amdhsa_exception_fp_denorm_src 0
		.amdhsa_exception_fp_ieee_div_zero 0
		.amdhsa_exception_fp_ieee_overflow 0
		.amdhsa_exception_fp_ieee_underflow 0
		.amdhsa_exception_fp_ieee_inexact 0
		.amdhsa_exception_int_div_zero 0
	.end_amdhsa_kernel
	.section	.text._Z21device_test_warp_maskILj22EEvP10TestStatus,"axG",@progbits,_Z21device_test_warp_maskILj22EEvP10TestStatus,comdat
.Lfunc_end71:
	.size	_Z21device_test_warp_maskILj22EEvP10TestStatus, .Lfunc_end71-_Z21device_test_warp_maskILj22EEvP10TestStatus
                                        ; -- End function
	.section	.AMDGPU.csdata,"",@progbits
; Kernel info:
; codeLenInByte = 612
; NumSgprs: 30
; NumVgprs: 2
; ScratchSize: 0
; MemoryBound: 0
; FloatMode: 240
; IeeeMode: 1
; LDSByteSize: 0 bytes/workgroup (compile time only)
; SGPRBlocks: 3
; VGPRBlocks: 0
; NumSGPRsForWavesPerEU: 30
; NumVGPRsForWavesPerEU: 2
; Occupancy: 16
; WaveLimiterHint : 0
; COMPUTE_PGM_RSRC2:SCRATCH_EN: 0
; COMPUTE_PGM_RSRC2:USER_SGPR: 15
; COMPUTE_PGM_RSRC2:TRAP_HANDLER: 0
; COMPUTE_PGM_RSRC2:TGID_X_EN: 1
; COMPUTE_PGM_RSRC2:TGID_Y_EN: 0
; COMPUTE_PGM_RSRC2:TGID_Z_EN: 0
; COMPUTE_PGM_RSRC2:TIDIG_COMP_CNT: 0
	.section	.text._Z21device_test_warp_maskILj23EEvP10TestStatus,"axG",@progbits,_Z21device_test_warp_maskILj23EEvP10TestStatus,comdat
	.protected	_Z21device_test_warp_maskILj23EEvP10TestStatus ; -- Begin function _Z21device_test_warp_maskILj23EEvP10TestStatus
	.globl	_Z21device_test_warp_maskILj23EEvP10TestStatus
	.p2align	8
	.type	_Z21device_test_warp_maskILj23EEvP10TestStatus,@function
_Z21device_test_warp_maskILj23EEvP10TestStatus: ; @_Z21device_test_warp_maskILj23EEvP10TestStatus
; %bb.0:
	s_mov_b32 s20, 23
	s_mov_b64 s[18:19], 31
	s_mov_b32 s13, 0
	s_branch .LBB72_3
.LBB72_1:                               ;   in Loop: Header=BB72_3 Depth=1
	s_mov_b32 s12, -1
                                        ; implicit-def: $sgpr18_sgpr19
                                        ; implicit-def: $sgpr6_sgpr7
                                        ; implicit-def: $sgpr8_sgpr9
                                        ; implicit-def: $sgpr10_sgpr11
                                        ; implicit-def: $sgpr14_sgpr15
                                        ; implicit-def: $sgpr16_sgpr17
.LBB72_2:                               ;   in Loop: Header=BB72_3 Depth=1
	s_delay_alu instid0(SALU_CYCLE_1)
	s_and_b32 vcc_lo, exec_lo, s12
	s_cbranch_vccnz .LBB72_13
.LBB72_3:                               ; =>This Inner Loop Header: Depth=1
	s_mov_b64 s[2:3], s[18:19]
	s_mov_b32 s27, 0
	s_cmpk_eq_i32 s2, 0x47
	s_mov_b32 s28, 0
	s_mov_b32 s26, 0
	;; [unrolled: 1-line block ×6, first 2 shown]
	s_mov_b32 s22, -1
	s_mov_b32 s12, -1
                                        ; implicit-def: $sgpr18_sgpr19
                                        ; implicit-def: $sgpr4_sgpr5
                                        ; implicit-def: $sgpr6_sgpr7
                                        ; implicit-def: $sgpr8_sgpr9
                                        ; implicit-def: $sgpr10_sgpr11
                                        ; implicit-def: $sgpr14_sgpr15
                                        ; implicit-def: $sgpr16_sgpr17
	s_cbranch_scc1 .LBB72_2
; %bb.4:                                ;   in Loop: Header=BB72_3 Depth=1
	s_add_u32 s4, s2, -7
	s_mov_b32 s21, -1
	s_lshl_b64 s[6:7], 1, s4
	s_mov_b32 s22, 0
	s_and_b32 s12, s6, 0x7ffffe
	s_delay_alu instid0(SALU_CYCLE_1)
	s_cmp_eq_u64 s[12:13], 0
	s_cbranch_scc0 .LBB72_1
; %bb.5:                                ;   in Loop: Header=BB72_3 Depth=1
	s_add_u32 s6, s2, -6
	s_mov_b32 s23, -1
	s_lshl_b64 s[8:9], 1, s6
	s_mov_b32 s21, 0
	s_and_b32 s12, s8, 0x7ffffe
                                        ; implicit-def: $sgpr18_sgpr19
                                        ; implicit-def: $sgpr8_sgpr9
                                        ; implicit-def: $sgpr10_sgpr11
                                        ; implicit-def: $sgpr14_sgpr15
                                        ; implicit-def: $sgpr16_sgpr17
	s_delay_alu instid0(SALU_CYCLE_1)
	s_cmp_eq_u64 s[12:13], 0
	s_mov_b32 s12, -1
	s_cbranch_scc0 .LBB72_2
; %bb.6:                                ;   in Loop: Header=BB72_3 Depth=1
	s_add_u32 s8, s2, -5
	s_mov_b32 s24, -1
	s_lshl_b64 s[10:11], 1, s8
	s_mov_b32 s23, 0
	s_and_b32 s12, s10, 0x7ffffe
                                        ; implicit-def: $sgpr18_sgpr19
                                        ; implicit-def: $sgpr10_sgpr11
                                        ; implicit-def: $sgpr14_sgpr15
                                        ; implicit-def: $sgpr16_sgpr17
	s_delay_alu instid0(SALU_CYCLE_1)
	s_cmp_eq_u64 s[12:13], 0
	s_mov_b32 s12, -1
	s_cbranch_scc0 .LBB72_2
; %bb.7:                                ;   in Loop: Header=BB72_3 Depth=1
	s_add_u32 s10, s2, -4
	s_mov_b32 s25, -1
	s_lshl_b64 s[14:15], 1, s10
	s_mov_b32 s24, 0
	s_and_b32 s12, s14, 0x7ffffe
                                        ; implicit-def: $sgpr18_sgpr19
                                        ; implicit-def: $sgpr14_sgpr15
                                        ; implicit-def: $sgpr16_sgpr17
	s_delay_alu instid0(SALU_CYCLE_1)
	s_cmp_eq_u64 s[12:13], 0
	s_mov_b32 s12, -1
	s_cbranch_scc0 .LBB72_2
; %bb.8:                                ;   in Loop: Header=BB72_3 Depth=1
	s_add_u32 s14, s2, -3
	s_mov_b32 s26, -1
	s_lshl_b64 s[16:17], 1, s14
	s_mov_b32 s25, 0
	s_and_b32 s12, s16, 0x7ffffe
                                        ; implicit-def: $sgpr18_sgpr19
                                        ; implicit-def: $sgpr16_sgpr17
	s_delay_alu instid0(SALU_CYCLE_1)
	s_cmp_eq_u64 s[12:13], 0
	s_mov_b32 s12, -1
	s_cbranch_scc0 .LBB72_2
; %bb.9:                                ;   in Loop: Header=BB72_3 Depth=1
	s_add_u32 s16, s2, -2
	s_mov_b32 s28, -1
	s_lshl_b64 s[18:19], 1, s16
	s_mov_b32 s26, 0
	s_and_b32 s12, s18, 0x7ffffe
                                        ; implicit-def: $sgpr18_sgpr19
	s_delay_alu instid0(SALU_CYCLE_1)
	s_cmp_eq_u64 s[12:13], 0
	s_mov_b32 s12, -1
	s_cbranch_scc0 .LBB72_2
; %bb.10:                               ;   in Loop: Header=BB72_3 Depth=1
	s_add_i32 s5, s2, -1
	s_mov_b32 s27, -1
	s_lshl_b64 s[18:19], 1, s5
	s_delay_alu instid0(SALU_CYCLE_1) | instskip(NEXT) | instid1(SALU_CYCLE_1)
	s_and_b32 s12, s18, 0x7ffffe
                                        ; implicit-def: $sgpr18_sgpr19
	s_cmp_eq_u64 s[12:13], 0
	s_mov_b32 s12, -1
	s_cbranch_scc0 .LBB72_12
; %bb.11:                               ;   in Loop: Header=BB72_3 Depth=1
	s_lshl_b64 s[18:19], 1, s2
	s_add_i32 s20, s20, 8
	s_and_b32 s12, s18, 0x7ffffe
	s_mov_b32 s27, 0
	s_cmp_lg_u64 s[12:13], 0
	s_cselect_b32 s12, -1, 0
	s_add_u32 s18, s2, 8
	s_addc_u32 s19, s3, 0
.LBB72_12:                              ;   in Loop: Header=BB72_3 Depth=1
	s_mov_b32 s28, 0
	s_branch .LBB72_2
.LBB72_13:
	s_and_b32 vcc_lo, exec_lo, s22
	s_mov_b32 s3, -1
	s_cbranch_vccnz .LBB72_44
; %bb.14:
	s_xor_b32 s3, s21, -1
	s_delay_alu instid0(SALU_CYCLE_1)
	s_and_not1_b32 vcc_lo, exec_lo, s3
	s_cbranch_vccnz .LBB72_43
; %bb.15:
	s_xor_b32 s3, s23, -1
	s_delay_alu instid0(SALU_CYCLE_1)
	s_and_not1_b32 vcc_lo, exec_lo, s3
	;; [unrolled: 5-line block ×6, first 2 shown]
	s_cbranch_vccnz .LBB72_26
; %bb.20:
	s_xor_b32 s3, s27, -1
	s_delay_alu instid0(SALU_CYCLE_1)
	s_and_b32 vcc_lo, exec_lo, s3
	s_cbranch_vccz .LBB72_27
; %bb.21:
	s_add_i32 s20, s18, -9
	s_mov_b32 s3, 0
	s_branch .LBB72_28
.LBB72_22:
                                        ; implicit-def: $sgpr20
	s_branch .LBB72_42
.LBB72_23:
                                        ; implicit-def: $sgpr20
	s_branch .LBB72_40
.LBB72_24:
	s_mov_b32 s3, -1
                                        ; implicit-def: $sgpr20
	s_branch .LBB72_37
.LBB72_25:
	s_mov_b32 s3, -1
                                        ; implicit-def: $sgpr20
	s_branch .LBB72_34
.LBB72_26:
	s_mov_b32 s3, -1
                                        ; implicit-def: $sgpr20
	s_branch .LBB72_31
.LBB72_27:
	s_mov_b32 s3, -1
                                        ; implicit-def: $sgpr20
.LBB72_28:
	s_delay_alu instid0(SALU_CYCLE_1)
	s_and_not1_b32 vcc_lo, exec_lo, s3
	s_cbranch_vccnz .LBB72_30
; %bb.29:
	s_mov_b32 s20, s16
.LBB72_30:
	s_mov_b32 s3, 0
.LBB72_31:
	s_delay_alu instid0(SALU_CYCLE_1)
	s_and_not1_b32 vcc_lo, exec_lo, s3
	s_cbranch_vccnz .LBB72_33
; %bb.32:
	s_mov_b32 s20, s14
.LBB72_33:
	s_mov_b32 s3, 0
.LBB72_34:
	s_delay_alu instid0(SALU_CYCLE_1)
	s_and_not1_b32 vcc_lo, exec_lo, s3
	s_cbranch_vccnz .LBB72_36
; %bb.35:
	s_mov_b32 s20, s10
.LBB72_36:
	s_mov_b32 s3, 0
.LBB72_37:
	s_delay_alu instid0(SALU_CYCLE_1)
	s_and_not1_b32 vcc_lo, exec_lo, s3
	s_cbranch_vccnz .LBB72_39
; %bb.38:
	s_mov_b32 s20, s8
.LBB72_39:
	s_cbranch_execnz .LBB72_41
.LBB72_40:
	s_mov_b32 s20, s6
.LBB72_41:
	s_cbranch_execnz .LBB72_43
.LBB72_42:
	s_mov_b32 s20, s4
.LBB72_43:
	s_mov_b32 s3, 0
.LBB72_44:
	s_delay_alu instid0(SALU_CYCLE_1)
	s_and_not1_b32 vcc_lo, exec_lo, s3
	s_cbranch_vccnz .LBB72_46
; %bb.45:
	s_add_i32 s20, s2, -8
.LBB72_46:
	s_load_b64 s[0:1], s[0:1], 0x0
	s_cmp_gt_u32 s20, 62
	s_cselect_b32 s2, -1, 0
	s_delay_alu instid0(SALU_CYCLE_1)
	v_cndmask_b32_e64 v1, 0, 1, s2
	s_waitcnt lgkmcnt(0)
	global_store_b8 v0, v1, s[0:1]
	s_nop 0
	s_sendmsg sendmsg(MSG_DEALLOC_VGPRS)
	s_endpgm
	.section	.rodata,"a",@progbits
	.p2align	6, 0x0
	.amdhsa_kernel _Z21device_test_warp_maskILj23EEvP10TestStatus
		.amdhsa_group_segment_fixed_size 0
		.amdhsa_private_segment_fixed_size 0
		.amdhsa_kernarg_size 8
		.amdhsa_user_sgpr_count 15
		.amdhsa_user_sgpr_dispatch_ptr 0
		.amdhsa_user_sgpr_queue_ptr 0
		.amdhsa_user_sgpr_kernarg_segment_ptr 1
		.amdhsa_user_sgpr_dispatch_id 0
		.amdhsa_user_sgpr_private_segment_size 0
		.amdhsa_wavefront_size32 1
		.amdhsa_uses_dynamic_stack 0
		.amdhsa_enable_private_segment 0
		.amdhsa_system_sgpr_workgroup_id_x 1
		.amdhsa_system_sgpr_workgroup_id_y 0
		.amdhsa_system_sgpr_workgroup_id_z 0
		.amdhsa_system_sgpr_workgroup_info 0
		.amdhsa_system_vgpr_workitem_id 0
		.amdhsa_next_free_vgpr 2
		.amdhsa_next_free_sgpr 29
		.amdhsa_reserve_vcc 1
		.amdhsa_float_round_mode_32 0
		.amdhsa_float_round_mode_16_64 0
		.amdhsa_float_denorm_mode_32 3
		.amdhsa_float_denorm_mode_16_64 3
		.amdhsa_dx10_clamp 1
		.amdhsa_ieee_mode 1
		.amdhsa_fp16_overflow 0
		.amdhsa_workgroup_processor_mode 1
		.amdhsa_memory_ordered 1
		.amdhsa_forward_progress 0
		.amdhsa_shared_vgpr_count 0
		.amdhsa_exception_fp_ieee_invalid_op 0
		.amdhsa_exception_fp_denorm_src 0
		.amdhsa_exception_fp_ieee_div_zero 0
		.amdhsa_exception_fp_ieee_overflow 0
		.amdhsa_exception_fp_ieee_underflow 0
		.amdhsa_exception_fp_ieee_inexact 0
		.amdhsa_exception_int_div_zero 0
	.end_amdhsa_kernel
	.section	.text._Z21device_test_warp_maskILj23EEvP10TestStatus,"axG",@progbits,_Z21device_test_warp_maskILj23EEvP10TestStatus,comdat
.Lfunc_end72:
	.size	_Z21device_test_warp_maskILj23EEvP10TestStatus, .Lfunc_end72-_Z21device_test_warp_maskILj23EEvP10TestStatus
                                        ; -- End function
	.section	.AMDGPU.csdata,"",@progbits
; Kernel info:
; codeLenInByte = 732
; NumSgprs: 31
; NumVgprs: 2
; ScratchSize: 0
; MemoryBound: 0
; FloatMode: 240
; IeeeMode: 1
; LDSByteSize: 0 bytes/workgroup (compile time only)
; SGPRBlocks: 3
; VGPRBlocks: 0
; NumSGPRsForWavesPerEU: 31
; NumVGPRsForWavesPerEU: 2
; Occupancy: 16
; WaveLimiterHint : 0
; COMPUTE_PGM_RSRC2:SCRATCH_EN: 0
; COMPUTE_PGM_RSRC2:USER_SGPR: 15
; COMPUTE_PGM_RSRC2:TRAP_HANDLER: 0
; COMPUTE_PGM_RSRC2:TGID_X_EN: 1
; COMPUTE_PGM_RSRC2:TGID_Y_EN: 0
; COMPUTE_PGM_RSRC2:TGID_Z_EN: 0
; COMPUTE_PGM_RSRC2:TIDIG_COMP_CNT: 0
	.section	.text._Z21device_test_warp_maskILj24EEvP10TestStatus,"axG",@progbits,_Z21device_test_warp_maskILj24EEvP10TestStatus,comdat
	.protected	_Z21device_test_warp_maskILj24EEvP10TestStatus ; -- Begin function _Z21device_test_warp_maskILj24EEvP10TestStatus
	.globl	_Z21device_test_warp_maskILj24EEvP10TestStatus
	.p2align	8
	.type	_Z21device_test_warp_maskILj24EEvP10TestStatus,@function
_Z21device_test_warp_maskILj24EEvP10TestStatus: ; @_Z21device_test_warp_maskILj24EEvP10TestStatus
; %bb.0:
	s_mov_b32 s24, 24
	s_mov_b64 s[22:23], 25
	s_mov_b32 s13, 0
	s_branch .LBB73_4
.LBB73_1:                               ;   in Loop: Header=BB73_4 Depth=1
	s_add_i32 s5, s2, 9
	s_delay_alu instid0(SALU_CYCLE_1) | instskip(NEXT) | instid1(SALU_CYCLE_1)
	s_lshl_b64 s[22:23], 1, s5
	s_and_b32 s12, s22, 0x555554
	s_delay_alu instid0(SALU_CYCLE_1)
	s_cmp_lg_u64 s[12:13], 0
                                        ; implicit-def: $sgpr12
	s_cselect_b32 s36, -1, 0
	s_add_u32 s22, s2, 10
	s_addc_u32 s23, s3, 0
	s_add_i32 s24, s24, 10
.LBB73_2:                               ;   in Loop: Header=BB73_4 Depth=1
	s_mov_b32 s35, 0
.LBB73_3:                               ;   in Loop: Header=BB73_4 Depth=1
	s_and_b32 vcc_lo, exec_lo, s36
	s_cbranch_vccnz .LBB73_15
.LBB73_4:                               ; =>This Inner Loop Header: Depth=1
	s_mov_b64 s[2:3], s[22:23]
	s_mov_b32 s25, -1
	s_lshl_b64 s[4:5], 1, s2
	s_mov_b32 s33, 0
	s_and_b32 s12, s4, 0xaaaaaa
	s_mov_b32 s35, 0
	s_cmp_lg_u64 s[12:13], 0
	s_mov_b32 s34, 0
	s_mov_b32 s31, 0
	;; [unrolled: 1-line block ×7, first 2 shown]
	s_mov_b32 s36, -1
                                        ; implicit-def: $sgpr22_sgpr23
                                        ; implicit-def: $sgpr12
                                        ; implicit-def: $sgpr4_sgpr5
                                        ; implicit-def: $sgpr6_sgpr7
                                        ; implicit-def: $sgpr8_sgpr9
                                        ; implicit-def: $sgpr10_sgpr11
                                        ; implicit-def: $sgpr14_sgpr15
                                        ; implicit-def: $sgpr16_sgpr17
                                        ; implicit-def: $sgpr18_sgpr19
                                        ; implicit-def: $sgpr20_sgpr21
	s_cbranch_scc1 .LBB73_3
; %bb.5:                                ;   in Loop: Header=BB73_4 Depth=1
	s_add_u32 s4, s2, 1
	s_mov_b32 s26, -1
	s_lshl_b64 s[6:7], 1, s4
	s_mov_b32 s25, 0
	s_and_b32 s12, s6, 0x555554
                                        ; implicit-def: $sgpr22_sgpr23
                                        ; implicit-def: $sgpr6_sgpr7
                                        ; implicit-def: $sgpr8_sgpr9
                                        ; implicit-def: $sgpr10_sgpr11
                                        ; implicit-def: $sgpr14_sgpr15
                                        ; implicit-def: $sgpr16_sgpr17
                                        ; implicit-def: $sgpr18_sgpr19
                                        ; implicit-def: $sgpr20_sgpr21
	s_delay_alu instid0(SALU_CYCLE_1)
	s_cmp_eq_u64 s[12:13], 0
                                        ; implicit-def: $sgpr12
	s_cbranch_scc0 .LBB73_3
; %bb.6:                                ;   in Loop: Header=BB73_4 Depth=1
	s_add_u32 s6, s2, 2
	s_mov_b32 s27, -1
	s_lshl_b64 s[8:9], 1, s6
	s_mov_b32 s26, 0
	s_and_b32 s12, s8, 0xaaaaaa
                                        ; implicit-def: $sgpr22_sgpr23
                                        ; implicit-def: $sgpr8_sgpr9
                                        ; implicit-def: $sgpr10_sgpr11
                                        ; implicit-def: $sgpr14_sgpr15
                                        ; implicit-def: $sgpr16_sgpr17
                                        ; implicit-def: $sgpr18_sgpr19
                                        ; implicit-def: $sgpr20_sgpr21
	s_delay_alu instid0(SALU_CYCLE_1)
	s_cmp_eq_u64 s[12:13], 0
                                        ; implicit-def: $sgpr12
	s_cbranch_scc0 .LBB73_3
; %bb.7:                                ;   in Loop: Header=BB73_4 Depth=1
	s_add_u32 s8, s2, 3
	s_mov_b32 s28, -1
	s_lshl_b64 s[10:11], 1, s8
	s_mov_b32 s27, 0
	s_and_b32 s12, s10, 0x555554
                                        ; implicit-def: $sgpr22_sgpr23
                                        ; implicit-def: $sgpr10_sgpr11
                                        ; implicit-def: $sgpr14_sgpr15
                                        ; implicit-def: $sgpr16_sgpr17
                                        ; implicit-def: $sgpr18_sgpr19
                                        ; implicit-def: $sgpr20_sgpr21
	s_delay_alu instid0(SALU_CYCLE_1)
	s_cmp_eq_u64 s[12:13], 0
                                        ; implicit-def: $sgpr12
	s_cbranch_scc0 .LBB73_3
; %bb.8:                                ;   in Loop: Header=BB73_4 Depth=1
	s_add_u32 s10, s2, 4
	s_mov_b32 s29, -1
	s_lshl_b64 s[14:15], 1, s10
	s_mov_b32 s28, 0
	s_and_b32 s12, s14, 0xaaaaaa
                                        ; implicit-def: $sgpr22_sgpr23
                                        ; implicit-def: $sgpr14_sgpr15
                                        ; implicit-def: $sgpr16_sgpr17
                                        ; implicit-def: $sgpr18_sgpr19
                                        ; implicit-def: $sgpr20_sgpr21
	s_delay_alu instid0(SALU_CYCLE_1)
	s_cmp_eq_u64 s[12:13], 0
                                        ; implicit-def: $sgpr12
	s_cbranch_scc0 .LBB73_3
; %bb.9:                                ;   in Loop: Header=BB73_4 Depth=1
	s_add_u32 s14, s2, 5
	s_mov_b32 s30, -1
	s_lshl_b64 s[16:17], 1, s14
	s_mov_b32 s29, 0
	s_and_b32 s12, s16, 0x555554
                                        ; implicit-def: $sgpr22_sgpr23
                                        ; implicit-def: $sgpr16_sgpr17
                                        ; implicit-def: $sgpr18_sgpr19
                                        ; implicit-def: $sgpr20_sgpr21
	s_delay_alu instid0(SALU_CYCLE_1)
	s_cmp_eq_u64 s[12:13], 0
                                        ; implicit-def: $sgpr12
	s_cbranch_scc0 .LBB73_3
; %bb.10:                               ;   in Loop: Header=BB73_4 Depth=1
	s_add_u32 s16, s2, 6
	s_mov_b32 s31, -1
	s_lshl_b64 s[18:19], 1, s16
	s_mov_b32 s30, 0
	s_and_b32 s12, s18, 0xaaaaaa
                                        ; implicit-def: $sgpr22_sgpr23
                                        ; implicit-def: $sgpr18_sgpr19
                                        ; implicit-def: $sgpr20_sgpr21
	s_delay_alu instid0(SALU_CYCLE_1)
	s_cmp_eq_u64 s[12:13], 0
                                        ; implicit-def: $sgpr12
	s_cbranch_scc0 .LBB73_3
; %bb.11:                               ;   in Loop: Header=BB73_4 Depth=1
	s_add_u32 s18, s2, 7
	s_mov_b32 s34, -1
	s_lshl_b64 s[20:21], 1, s18
	s_mov_b32 s31, 0
	s_and_b32 s12, s20, 0x555554
                                        ; implicit-def: $sgpr22_sgpr23
                                        ; implicit-def: $sgpr20_sgpr21
	s_delay_alu instid0(SALU_CYCLE_1)
	s_cmp_eq_u64 s[12:13], 0
                                        ; implicit-def: $sgpr12
	s_cbranch_scc0 .LBB73_3
; %bb.12:                               ;   in Loop: Header=BB73_4 Depth=1
	s_add_u32 s20, s2, 8
	s_mov_b32 s35, -1
	s_lshl_b64 s[22:23], 1, s20
	s_mov_b32 s34, 0
	s_and_b32 s12, s22, 0xaaaaaa
                                        ; implicit-def: $sgpr22_sgpr23
	s_delay_alu instid0(SALU_CYCLE_1)
	s_cmp_eq_u64 s[12:13], 0
                                        ; implicit-def: $sgpr12
	s_cbranch_scc0 .LBB73_3
; %bb.13:                               ;   in Loop: Header=BB73_4 Depth=1
	s_cmp_lg_u32 s2, 55
	s_cbranch_scc1 .LBB73_1
; %bb.14:                               ;   in Loop: Header=BB73_4 Depth=1
	s_add_i32 s12, s24, 9
	s_mov_b32 s33, -1
                                        ; implicit-def: $sgpr24
                                        ; implicit-def: $sgpr22_sgpr23
	s_branch .LBB73_2
.LBB73_15:
	s_and_b32 vcc_lo, exec_lo, s25
	s_mov_b32 s3, -1
	s_cbranch_vccnz .LBB73_56
; %bb.16:
	s_xor_b32 s3, s26, -1
	s_delay_alu instid0(SALU_CYCLE_1)
	s_and_not1_b32 vcc_lo, exec_lo, s3
	s_cbranch_vccnz .LBB73_27
; %bb.17:
	s_xor_b32 s3, s27, -1
	s_delay_alu instid0(SALU_CYCLE_1)
	s_and_not1_b32 vcc_lo, exec_lo, s3
	;; [unrolled: 5-line block ×8, first 2 shown]
	s_cbranch_vccnz .LBB73_34
; %bb.24:
	s_xor_b32 s3, s33, -1
	s_delay_alu instid0(SALU_CYCLE_1)
	s_and_b32 vcc_lo, exec_lo, s3
	s_cbranch_vccz .LBB73_26
; %bb.25:
	s_mov_b32 s12, s20
.LBB73_26:
	s_mov_b32 s3, 0
	s_branch .LBB73_35
.LBB73_27:
                                        ; implicit-def: $sgpr12
	s_branch .LBB73_54
.LBB73_28:
                                        ; implicit-def: $sgpr12
	s_branch .LBB73_52
.LBB73_29:
                                        ; implicit-def: $sgpr12
	s_branch .LBB73_50
.LBB73_30:
	s_mov_b32 s3, -1
                                        ; implicit-def: $sgpr12
	s_branch .LBB73_47
.LBB73_31:
	s_mov_b32 s3, -1
                                        ; implicit-def: $sgpr12
	s_branch .LBB73_44
.LBB73_32:
	s_mov_b32 s3, -1
                                        ; implicit-def: $sgpr12
	s_branch .LBB73_41
.LBB73_33:
	s_mov_b32 s3, -1
                                        ; implicit-def: $sgpr12
	s_branch .LBB73_38
.LBB73_34:
	s_mov_b32 s3, -1
                                        ; implicit-def: $sgpr12
.LBB73_35:
	s_delay_alu instid0(SALU_CYCLE_1)
	s_and_not1_b32 vcc_lo, exec_lo, s3
	s_cbranch_vccnz .LBB73_37
; %bb.36:
	s_mov_b32 s12, s18
.LBB73_37:
	s_mov_b32 s3, 0
.LBB73_38:
	s_delay_alu instid0(SALU_CYCLE_1)
	s_and_not1_b32 vcc_lo, exec_lo, s3
	s_cbranch_vccnz .LBB73_40
; %bb.39:
	s_mov_b32 s12, s16
.LBB73_40:
	s_mov_b32 s3, 0
.LBB73_41:
	s_delay_alu instid0(SALU_CYCLE_1)
	s_and_not1_b32 vcc_lo, exec_lo, s3
	s_cbranch_vccnz .LBB73_43
; %bb.42:
	s_mov_b32 s12, s14
.LBB73_43:
	s_mov_b32 s3, 0
.LBB73_44:
	s_delay_alu instid0(SALU_CYCLE_1)
	s_and_not1_b32 vcc_lo, exec_lo, s3
	s_cbranch_vccnz .LBB73_46
; %bb.45:
	s_mov_b32 s12, s10
.LBB73_46:
	s_mov_b32 s3, 0
.LBB73_47:
	s_delay_alu instid0(SALU_CYCLE_1)
	s_and_not1_b32 vcc_lo, exec_lo, s3
	s_cbranch_vccnz .LBB73_49
; %bb.48:
	s_mov_b32 s12, s8
.LBB73_49:
	s_cbranch_execnz .LBB73_51
.LBB73_50:
	s_mov_b32 s12, s6
.LBB73_51:
	s_cbranch_execnz .LBB73_53
.LBB73_52:
	s_mov_b32 s12, s4
.LBB73_53:
	s_cbranch_execnz .LBB73_55
.LBB73_54:
	s_mov_b32 s12, s2
.LBB73_55:
	s_mov_b32 s3, 0
.LBB73_56:
	s_delay_alu instid0(SALU_CYCLE_1)
	s_and_not1_b32 vcc_lo, exec_lo, s3
	s_cbranch_vccnz .LBB73_58
; %bb.57:
	s_add_i32 s12, s2, -1
.LBB73_58:
	s_load_b64 s[0:1], s[0:1], 0x0
	s_cmp_gt_u32 s12, 62
	s_cselect_b32 s2, -1, 0
	s_delay_alu instid0(SALU_CYCLE_1)
	v_cndmask_b32_e64 v1, 0, 1, s2
	s_waitcnt lgkmcnt(0)
	global_store_b8 v0, v1, s[0:1]
	s_nop 0
	s_sendmsg sendmsg(MSG_DEALLOC_VGPRS)
	s_endpgm
	.section	.rodata,"a",@progbits
	.p2align	6, 0x0
	.amdhsa_kernel _Z21device_test_warp_maskILj24EEvP10TestStatus
		.amdhsa_group_segment_fixed_size 0
		.amdhsa_private_segment_fixed_size 0
		.amdhsa_kernarg_size 8
		.amdhsa_user_sgpr_count 15
		.amdhsa_user_sgpr_dispatch_ptr 0
		.amdhsa_user_sgpr_queue_ptr 0
		.amdhsa_user_sgpr_kernarg_segment_ptr 1
		.amdhsa_user_sgpr_dispatch_id 0
		.amdhsa_user_sgpr_private_segment_size 0
		.amdhsa_wavefront_size32 1
		.amdhsa_uses_dynamic_stack 0
		.amdhsa_enable_private_segment 0
		.amdhsa_system_sgpr_workgroup_id_x 1
		.amdhsa_system_sgpr_workgroup_id_y 0
		.amdhsa_system_sgpr_workgroup_id_z 0
		.amdhsa_system_sgpr_workgroup_info 0
		.amdhsa_system_vgpr_workitem_id 0
		.amdhsa_next_free_vgpr 2
		.amdhsa_next_free_sgpr 37
		.amdhsa_reserve_vcc 1
		.amdhsa_float_round_mode_32 0
		.amdhsa_float_round_mode_16_64 0
		.amdhsa_float_denorm_mode_32 3
		.amdhsa_float_denorm_mode_16_64 3
		.amdhsa_dx10_clamp 1
		.amdhsa_ieee_mode 1
		.amdhsa_fp16_overflow 0
		.amdhsa_workgroup_processor_mode 1
		.amdhsa_memory_ordered 1
		.amdhsa_forward_progress 0
		.amdhsa_shared_vgpr_count 0
		.amdhsa_exception_fp_ieee_invalid_op 0
		.amdhsa_exception_fp_denorm_src 0
		.amdhsa_exception_fp_ieee_div_zero 0
		.amdhsa_exception_fp_ieee_overflow 0
		.amdhsa_exception_fp_ieee_underflow 0
		.amdhsa_exception_fp_ieee_inexact 0
		.amdhsa_exception_int_div_zero 0
	.end_amdhsa_kernel
	.section	.text._Z21device_test_warp_maskILj24EEvP10TestStatus,"axG",@progbits,_Z21device_test_warp_maskILj24EEvP10TestStatus,comdat
.Lfunc_end73:
	.size	_Z21device_test_warp_maskILj24EEvP10TestStatus, .Lfunc_end73-_Z21device_test_warp_maskILj24EEvP10TestStatus
                                        ; -- End function
	.section	.AMDGPU.csdata,"",@progbits
; Kernel info:
; codeLenInByte = 856
; NumSgprs: 39
; NumVgprs: 2
; ScratchSize: 0
; MemoryBound: 0
; FloatMode: 240
; IeeeMode: 1
; LDSByteSize: 0 bytes/workgroup (compile time only)
; SGPRBlocks: 4
; VGPRBlocks: 0
; NumSGPRsForWavesPerEU: 39
; NumVGPRsForWavesPerEU: 2
; Occupancy: 16
; WaveLimiterHint : 0
; COMPUTE_PGM_RSRC2:SCRATCH_EN: 0
; COMPUTE_PGM_RSRC2:USER_SGPR: 15
; COMPUTE_PGM_RSRC2:TRAP_HANDLER: 0
; COMPUTE_PGM_RSRC2:TGID_X_EN: 1
; COMPUTE_PGM_RSRC2:TGID_Y_EN: 0
; COMPUTE_PGM_RSRC2:TGID_Z_EN: 0
; COMPUTE_PGM_RSRC2:TIDIG_COMP_CNT: 0
	.section	.text._Z21device_test_warp_maskILj25EEvP10TestStatus,"axG",@progbits,_Z21device_test_warp_maskILj25EEvP10TestStatus,comdat
	.protected	_Z21device_test_warp_maskILj25EEvP10TestStatus ; -- Begin function _Z21device_test_warp_maskILj25EEvP10TestStatus
	.globl	_Z21device_test_warp_maskILj25EEvP10TestStatus
	.p2align	8
	.type	_Z21device_test_warp_maskILj25EEvP10TestStatus,@function
_Z21device_test_warp_maskILj25EEvP10TestStatus: ; @_Z21device_test_warp_maskILj25EEvP10TestStatus
; %bb.0:
	s_mov_b32 s12, 25
	s_mov_b64 s[8:9], 28
	s_mov_b32 s5, 0
	s_set_inst_prefetch_distance 0x1
	s_branch .LBB74_3
.LBB74_1:                               ;   in Loop: Header=BB74_3 Depth=1
	s_mov_b32 s15, 0
	.p2align	6
.LBB74_2:                               ;   in Loop: Header=BB74_3 Depth=1
	s_and_b32 vcc_lo, exec_lo, s4
	s_cbranch_vccnz .LBB74_7
.LBB74_3:                               ; =>This Inner Loop Header: Depth=1
	s_mov_b64 s[2:3], s[8:9]
	s_mov_b32 s13, -1
	s_add_u32 s10, s2, -2
	s_mov_b32 s14, 0
	s_lshl_b64 s[6:7], 1, s10
	s_mov_b32 s15, 0
	s_and_b32 s4, s6, 0x1fffffe
                                        ; implicit-def: $sgpr8_sgpr9
                                        ; implicit-def: $sgpr11
                                        ; implicit-def: $sgpr6_sgpr7
	s_delay_alu instid0(SALU_CYCLE_1)
	s_cmp_lg_u64 s[4:5], 0
	s_mov_b32 s4, -1
	s_cbranch_scc1 .LBB74_2
; %bb.4:                                ;   in Loop: Header=BB74_3 Depth=1
	s_add_u32 s6, s2, -1
	s_mov_b32 s15, -1
	s_lshl_b64 s[8:9], 1, s6
	s_mov_b32 s13, 0
	s_and_b32 s4, s8, 0x1fffffe
                                        ; implicit-def: $sgpr8_sgpr9
                                        ; implicit-def: $sgpr11
	s_delay_alu instid0(SALU_CYCLE_1)
	s_cmp_eq_u64 s[4:5], 0
	s_mov_b32 s4, -1
	s_cbranch_scc0 .LBB74_2
; %bb.5:                                ;   in Loop: Header=BB74_3 Depth=1
	s_mov_b32 s14, -1
	s_cmp_lg_u32 s2, 64
                                        ; implicit-def: $sgpr8_sgpr9
                                        ; implicit-def: $sgpr11
	s_cbranch_scc0 .LBB74_1
; %bb.6:                                ;   in Loop: Header=BB74_3 Depth=1
	s_lshl_b64 s[8:9], 1, s2
	s_add_i32 s11, s12, 2
	s_and_b32 s4, s8, 0x1fffffe
	s_mov_b32 s14, 0
	s_cmp_lg_u64 s[4:5], 0
	s_cselect_b32 s4, -1, 0
	s_add_u32 s8, s2, 3
	s_addc_u32 s9, s3, 0
	s_add_i32 s12, s12, 3
	s_branch .LBB74_1
.LBB74_7:
	s_set_inst_prefetch_distance 0x2
	s_and_b32 vcc_lo, exec_lo, s13
	s_mov_b32 s3, -1
	s_cbranch_vccnz .LBB74_15
; %bb.8:
	s_xor_b32 s3, s15, -1
	s_delay_alu instid0(SALU_CYCLE_1)
	s_and_not1_b32 vcc_lo, exec_lo, s3
	s_cbranch_vccnz .LBB74_12
; %bb.9:
	s_and_b32 vcc_lo, exec_lo, s14
	s_cbranch_vccz .LBB74_11
; %bb.10:
	s_mov_b32 s11, s6
.LBB74_11:
	s_cbranch_execz .LBB74_13
	s_branch .LBB74_14
.LBB74_12:
                                        ; implicit-def: $sgpr11
.LBB74_13:
	s_mov_b32 s11, s10
.LBB74_14:
	s_mov_b32 s3, 0
.LBB74_15:
	s_delay_alu instid0(SALU_CYCLE_1)
	s_and_not1_b32 vcc_lo, exec_lo, s3
	s_cbranch_vccnz .LBB74_17
; %bb.16:
	s_add_i32 s11, s2, -3
.LBB74_17:
	s_load_b64 s[0:1], s[0:1], 0x0
	s_cmp_gt_u32 s11, 62
	s_cselect_b32 s2, -1, 0
	s_delay_alu instid0(SALU_CYCLE_1)
	v_cndmask_b32_e64 v1, 0, 1, s2
	s_waitcnt lgkmcnt(0)
	global_store_b8 v0, v1, s[0:1]
	s_nop 0
	s_sendmsg sendmsg(MSG_DEALLOC_VGPRS)
	s_endpgm
	.section	.rodata,"a",@progbits
	.p2align	6, 0x0
	.amdhsa_kernel _Z21device_test_warp_maskILj25EEvP10TestStatus
		.amdhsa_group_segment_fixed_size 0
		.amdhsa_private_segment_fixed_size 0
		.amdhsa_kernarg_size 8
		.amdhsa_user_sgpr_count 15
		.amdhsa_user_sgpr_dispatch_ptr 0
		.amdhsa_user_sgpr_queue_ptr 0
		.amdhsa_user_sgpr_kernarg_segment_ptr 1
		.amdhsa_user_sgpr_dispatch_id 0
		.amdhsa_user_sgpr_private_segment_size 0
		.amdhsa_wavefront_size32 1
		.amdhsa_uses_dynamic_stack 0
		.amdhsa_enable_private_segment 0
		.amdhsa_system_sgpr_workgroup_id_x 1
		.amdhsa_system_sgpr_workgroup_id_y 0
		.amdhsa_system_sgpr_workgroup_id_z 0
		.amdhsa_system_sgpr_workgroup_info 0
		.amdhsa_system_vgpr_workitem_id 0
		.amdhsa_next_free_vgpr 2
		.amdhsa_next_free_sgpr 16
		.amdhsa_reserve_vcc 1
		.amdhsa_float_round_mode_32 0
		.amdhsa_float_round_mode_16_64 0
		.amdhsa_float_denorm_mode_32 3
		.amdhsa_float_denorm_mode_16_64 3
		.amdhsa_dx10_clamp 1
		.amdhsa_ieee_mode 1
		.amdhsa_fp16_overflow 0
		.amdhsa_workgroup_processor_mode 1
		.amdhsa_memory_ordered 1
		.amdhsa_forward_progress 0
		.amdhsa_shared_vgpr_count 0
		.amdhsa_exception_fp_ieee_invalid_op 0
		.amdhsa_exception_fp_denorm_src 0
		.amdhsa_exception_fp_ieee_div_zero 0
		.amdhsa_exception_fp_ieee_overflow 0
		.amdhsa_exception_fp_ieee_underflow 0
		.amdhsa_exception_fp_ieee_inexact 0
		.amdhsa_exception_int_div_zero 0
	.end_amdhsa_kernel
	.section	.text._Z21device_test_warp_maskILj25EEvP10TestStatus,"axG",@progbits,_Z21device_test_warp_maskILj25EEvP10TestStatus,comdat
.Lfunc_end74:
	.size	_Z21device_test_warp_maskILj25EEvP10TestStatus, .Lfunc_end74-_Z21device_test_warp_maskILj25EEvP10TestStatus
                                        ; -- End function
	.section	.AMDGPU.csdata,"",@progbits
; Kernel info:
; codeLenInByte = 304
; NumSgprs: 18
; NumVgprs: 2
; ScratchSize: 0
; MemoryBound: 0
; FloatMode: 240
; IeeeMode: 1
; LDSByteSize: 0 bytes/workgroup (compile time only)
; SGPRBlocks: 2
; VGPRBlocks: 0
; NumSGPRsForWavesPerEU: 18
; NumVGPRsForWavesPerEU: 2
; Occupancy: 16
; WaveLimiterHint : 0
; COMPUTE_PGM_RSRC2:SCRATCH_EN: 0
; COMPUTE_PGM_RSRC2:USER_SGPR: 15
; COMPUTE_PGM_RSRC2:TRAP_HANDLER: 0
; COMPUTE_PGM_RSRC2:TGID_X_EN: 1
; COMPUTE_PGM_RSRC2:TGID_Y_EN: 0
; COMPUTE_PGM_RSRC2:TGID_Z_EN: 0
; COMPUTE_PGM_RSRC2:TIDIG_COMP_CNT: 0
	.section	.text._Z21device_test_warp_maskILj26EEvP10TestStatus,"axG",@progbits,_Z21device_test_warp_maskILj26EEvP10TestStatus,comdat
	.protected	_Z21device_test_warp_maskILj26EEvP10TestStatus ; -- Begin function _Z21device_test_warp_maskILj26EEvP10TestStatus
	.globl	_Z21device_test_warp_maskILj26EEvP10TestStatus
	.p2align	8
	.type	_Z21device_test_warp_maskILj26EEvP10TestStatus,@function
_Z21device_test_warp_maskILj26EEvP10TestStatus: ; @_Z21device_test_warp_maskILj26EEvP10TestStatus
; %bb.0:
	s_mov_b32 s8, 26
	s_mov_b64 s[6:7], 27
	s_mov_b32 s5, 0
	s_set_inst_prefetch_distance 0x1
	s_branch .LBB75_3
	.p2align	6
.LBB75_1:                               ;   in Loop: Header=BB75_3 Depth=1
	s_mov_b32 s10, 0
.LBB75_2:                               ;   in Loop: Header=BB75_3 Depth=1
	s_and_b32 vcc_lo, exec_lo, s4
	s_cbranch_vccnz .LBB75_6
.LBB75_3:                               ; =>This Inner Loop Header: Depth=1
	s_mov_b64 s[2:3], s[6:7]
	s_mov_b32 s10, -1
	s_lshl_b64 s[6:7], 1, s2
                                        ; implicit-def: $sgpr9
	s_delay_alu instid0(SALU_CYCLE_1) | instskip(NEXT) | instid1(SALU_CYCLE_1)
	s_and_b32 s4, s6, 0x2aaaaaa
                                        ; implicit-def: $sgpr6_sgpr7
	s_cmp_lg_u64 s[4:5], 0
	s_mov_b32 s4, -1
	s_cbranch_scc1 .LBB75_2
; %bb.4:                                ;   in Loop: Header=BB75_3 Depth=1
	s_cmp_lg_u32 s2, 63
	s_mov_b32 s9, 63
                                        ; implicit-def: $sgpr6_sgpr7
	s_cbranch_scc0 .LBB75_1
; %bb.5:                                ;   in Loop: Header=BB75_3 Depth=1
	s_add_i32 s4, s2, 1
	s_or_b32 s9, s8, 1
	s_lshl_b64 s[6:7], 1, s4
	s_delay_alu instid0(SALU_CYCLE_1) | instskip(NEXT) | instid1(SALU_CYCLE_1)
	s_and_b32 s4, s6, 0x1555554
	s_cmp_lg_u64 s[4:5], 0
	s_cselect_b32 s4, -1, 0
	s_add_u32 s6, s2, 2
	s_addc_u32 s7, s3, 0
	s_add_i32 s8, s8, 2
	s_branch .LBB75_1
.LBB75_6:
	s_set_inst_prefetch_distance 0x2
	s_and_b32 vcc_lo, exec_lo, s10
	s_cbranch_vccz .LBB75_8
; %bb.7:
	s_add_i32 s9, s2, -1
.LBB75_8:
	s_load_b64 s[0:1], s[0:1], 0x0
	s_cmp_gt_u32 s9, 62
	s_cselect_b32 s2, -1, 0
	s_delay_alu instid0(SALU_CYCLE_1)
	v_cndmask_b32_e64 v1, 0, 1, s2
	s_waitcnt lgkmcnt(0)
	global_store_b8 v0, v1, s[0:1]
	s_nop 0
	s_sendmsg sendmsg(MSG_DEALLOC_VGPRS)
	s_endpgm
	.section	.rodata,"a",@progbits
	.p2align	6, 0x0
	.amdhsa_kernel _Z21device_test_warp_maskILj26EEvP10TestStatus
		.amdhsa_group_segment_fixed_size 0
		.amdhsa_private_segment_fixed_size 0
		.amdhsa_kernarg_size 8
		.amdhsa_user_sgpr_count 15
		.amdhsa_user_sgpr_dispatch_ptr 0
		.amdhsa_user_sgpr_queue_ptr 0
		.amdhsa_user_sgpr_kernarg_segment_ptr 1
		.amdhsa_user_sgpr_dispatch_id 0
		.amdhsa_user_sgpr_private_segment_size 0
		.amdhsa_wavefront_size32 1
		.amdhsa_uses_dynamic_stack 0
		.amdhsa_enable_private_segment 0
		.amdhsa_system_sgpr_workgroup_id_x 1
		.amdhsa_system_sgpr_workgroup_id_y 0
		.amdhsa_system_sgpr_workgroup_id_z 0
		.amdhsa_system_sgpr_workgroup_info 0
		.amdhsa_system_vgpr_workitem_id 0
		.amdhsa_next_free_vgpr 2
		.amdhsa_next_free_sgpr 11
		.amdhsa_reserve_vcc 1
		.amdhsa_float_round_mode_32 0
		.amdhsa_float_round_mode_16_64 0
		.amdhsa_float_denorm_mode_32 3
		.amdhsa_float_denorm_mode_16_64 3
		.amdhsa_dx10_clamp 1
		.amdhsa_ieee_mode 1
		.amdhsa_fp16_overflow 0
		.amdhsa_workgroup_processor_mode 1
		.amdhsa_memory_ordered 1
		.amdhsa_forward_progress 0
		.amdhsa_shared_vgpr_count 0
		.amdhsa_exception_fp_ieee_invalid_op 0
		.amdhsa_exception_fp_denorm_src 0
		.amdhsa_exception_fp_ieee_div_zero 0
		.amdhsa_exception_fp_ieee_overflow 0
		.amdhsa_exception_fp_ieee_underflow 0
		.amdhsa_exception_fp_ieee_inexact 0
		.amdhsa_exception_int_div_zero 0
	.end_amdhsa_kernel
	.section	.text._Z21device_test_warp_maskILj26EEvP10TestStatus,"axG",@progbits,_Z21device_test_warp_maskILj26EEvP10TestStatus,comdat
.Lfunc_end75:
	.size	_Z21device_test_warp_maskILj26EEvP10TestStatus, .Lfunc_end75-_Z21device_test_warp_maskILj26EEvP10TestStatus
                                        ; -- End function
	.section	.AMDGPU.csdata,"",@progbits
; Kernel info:
; codeLenInByte = 196
; NumSgprs: 13
; NumVgprs: 2
; ScratchSize: 0
; MemoryBound: 0
; FloatMode: 240
; IeeeMode: 1
; LDSByteSize: 0 bytes/workgroup (compile time only)
; SGPRBlocks: 1
; VGPRBlocks: 0
; NumSGPRsForWavesPerEU: 13
; NumVGPRsForWavesPerEU: 2
; Occupancy: 16
; WaveLimiterHint : 0
; COMPUTE_PGM_RSRC2:SCRATCH_EN: 0
; COMPUTE_PGM_RSRC2:USER_SGPR: 15
; COMPUTE_PGM_RSRC2:TRAP_HANDLER: 0
; COMPUTE_PGM_RSRC2:TGID_X_EN: 1
; COMPUTE_PGM_RSRC2:TGID_Y_EN: 0
; COMPUTE_PGM_RSRC2:TGID_Z_EN: 0
; COMPUTE_PGM_RSRC2:TIDIG_COMP_CNT: 0
	.section	.text._Z21device_test_warp_maskILj27EEvP10TestStatus,"axG",@progbits,_Z21device_test_warp_maskILj27EEvP10TestStatus,comdat
	.protected	_Z21device_test_warp_maskILj27EEvP10TestStatus ; -- Begin function _Z21device_test_warp_maskILj27EEvP10TestStatus
	.globl	_Z21device_test_warp_maskILj27EEvP10TestStatus
	.p2align	8
	.type	_Z21device_test_warp_maskILj27EEvP10TestStatus,@function
_Z21device_test_warp_maskILj27EEvP10TestStatus: ; @_Z21device_test_warp_maskILj27EEvP10TestStatus
; %bb.0:
	s_mov_b32 s19, 27
	s_mov_b64 s[16:17], 35
	s_mov_b32 s11, 0
	s_branch .LBB76_3
.LBB76_1:                               ;   in Loop: Header=BB76_3 Depth=1
	s_add_i32 s10, s19, 4
	s_mov_b32 s25, -1
                                        ; implicit-def: $sgpr19
                                        ; implicit-def: $sgpr16_sgpr17
                                        ; implicit-def: $sgpr12_sgpr13
                                        ; implicit-def: $sgpr14_sgpr15
.LBB76_2:                               ;   in Loop: Header=BB76_3 Depth=1
	s_and_b32 vcc_lo, exec_lo, s28
	s_cbranch_vccnz .LBB76_14
.LBB76_3:                               ; =>This Inner Loop Header: Depth=1
	s_mov_b64 s[2:3], s[16:17]
	s_mov_b32 s26, 0
	s_add_u32 s18, s2, -7
	s_mov_b32 s27, 0
	s_lshl_b64 s[4:5], 1, s18
	s_mov_b32 s24, 0
	s_and_b32 s10, s4, 0x7fffffe
	s_mov_b32 s25, 0
	s_cmp_lg_u64 s[10:11], 0
	s_mov_b32 s23, 0
	s_mov_b32 s22, 0
	;; [unrolled: 1-line block ×3, first 2 shown]
	s_mov_b32 s21, -1
	s_mov_b32 s28, -1
                                        ; implicit-def: $sgpr16_sgpr17
                                        ; implicit-def: $sgpr10
                                        ; implicit-def: $sgpr4_sgpr5
                                        ; implicit-def: $sgpr6_sgpr7
                                        ; implicit-def: $sgpr8_sgpr9
                                        ; implicit-def: $sgpr12_sgpr13
                                        ; implicit-def: $sgpr14_sgpr15
	s_cbranch_scc1 .LBB76_2
; %bb.4:                                ;   in Loop: Header=BB76_3 Depth=1
	s_add_u32 s4, s2, -6
	s_mov_b32 s20, -1
	s_lshl_b64 s[6:7], 1, s4
	s_mov_b32 s21, 0
	s_and_b32 s10, s6, 0x7fffffe
                                        ; implicit-def: $sgpr16_sgpr17
                                        ; implicit-def: $sgpr6_sgpr7
                                        ; implicit-def: $sgpr8_sgpr9
                                        ; implicit-def: $sgpr12_sgpr13
                                        ; implicit-def: $sgpr14_sgpr15
	s_delay_alu instid0(SALU_CYCLE_1)
	s_cmp_eq_u64 s[10:11], 0
                                        ; implicit-def: $sgpr10
	s_cbranch_scc0 .LBB76_2
; %bb.5:                                ;   in Loop: Header=BB76_3 Depth=1
	s_add_u32 s6, s2, -5
	s_mov_b32 s22, -1
	s_lshl_b64 s[8:9], 1, s6
	s_mov_b32 s20, 0
	s_and_b32 s10, s8, 0x7fffffe
                                        ; implicit-def: $sgpr16_sgpr17
                                        ; implicit-def: $sgpr8_sgpr9
                                        ; implicit-def: $sgpr12_sgpr13
                                        ; implicit-def: $sgpr14_sgpr15
	s_delay_alu instid0(SALU_CYCLE_1)
	s_cmp_eq_u64 s[10:11], 0
                                        ; implicit-def: $sgpr10
	s_cbranch_scc0 .LBB76_2
; %bb.6:                                ;   in Loop: Header=BB76_3 Depth=1
	s_add_u32 s8, s2, -4
	s_mov_b32 s23, -1
	s_lshl_b64 s[12:13], 1, s8
	s_mov_b32 s22, 0
	s_and_b32 s10, s12, 0x7fffffe
                                        ; implicit-def: $sgpr16_sgpr17
                                        ; implicit-def: $sgpr12_sgpr13
                                        ; implicit-def: $sgpr14_sgpr15
	s_delay_alu instid0(SALU_CYCLE_1)
	s_cmp_eq_u64 s[10:11], 0
                                        ; implicit-def: $sgpr10
	s_cbranch_scc0 .LBB76_2
; %bb.7:                                ;   in Loop: Header=BB76_3 Depth=1
	s_cmpk_lg_i32 s2, 0x43
	s_mov_b32 s23, 0
	s_cbranch_scc0 .LBB76_1
; %bb.8:                                ;   in Loop: Header=BB76_3 Depth=1
	s_add_u32 s12, s2, -3
	s_mov_b32 s24, -1
	s_lshl_b64 s[14:15], 1, s12
                                        ; implicit-def: $sgpr16_sgpr17
	s_delay_alu instid0(SALU_CYCLE_1) | instskip(NEXT) | instid1(SALU_CYCLE_1)
	s_and_b32 s10, s14, 0x7fffffe
                                        ; implicit-def: $sgpr14_sgpr15
	s_cmp_eq_u64 s[10:11], 0
	s_cbranch_scc0 .LBB76_10
; %bb.9:                                ;   in Loop: Header=BB76_3 Depth=1
	s_add_u32 s14, s2, -2
	s_mov_b32 s27, -1
	s_lshl_b64 s[16:17], 1, s14
	s_mov_b32 s24, 0
	s_and_b32 s10, s16, 0x7fffffe
                                        ; implicit-def: $sgpr16_sgpr17
	s_delay_alu instid0(SALU_CYCLE_1)
	s_cmp_eq_u64 s[10:11], 0
	s_cbranch_scc1 .LBB76_11
.LBB76_10:                              ;   in Loop: Header=BB76_3 Depth=1
                                        ; implicit-def: $sgpr10
	s_branch .LBB76_2
.LBB76_11:                              ;   in Loop: Header=BB76_3 Depth=1
	s_add_i32 s5, s2, -1
	s_mov_b32 s26, -1
	s_lshl_b64 s[16:17], 1, s5
	s_delay_alu instid0(SALU_CYCLE_1) | instskip(NEXT) | instid1(SALU_CYCLE_1)
	s_and_b32 s10, s16, 0x7fffffe
                                        ; implicit-def: $sgpr16_sgpr17
	s_cmp_eq_u64 s[10:11], 0
	s_cbranch_scc1 .LBB76_13
; %bb.12:                               ;   in Loop: Header=BB76_3 Depth=1
	s_mov_b32 s27, 0
                                        ; implicit-def: $sgpr10
	s_branch .LBB76_2
.LBB76_13:                              ;   in Loop: Header=BB76_3 Depth=1
	s_lshl_b64 s[16:17], 1, s2
	s_add_i32 s19, s19, 8
	s_and_b32 s10, s16, 0x7fffffe
	s_mov_b32 s26, 0
	s_cmp_lg_u64 s[10:11], 0
	s_mov_b32 s27, 0
	s_cselect_b32 s28, -1, 0
	s_add_u32 s16, s2, 8
	s_addc_u32 s17, s3, 0
                                        ; implicit-def: $sgpr10
	s_branch .LBB76_2
.LBB76_14:
	s_and_b32 vcc_lo, exec_lo, s21
	s_mov_b32 s3, -1
	s_cbranch_vccnz .LBB76_44
; %bb.15:
	s_xor_b32 s3, s20, -1
	s_delay_alu instid0(SALU_CYCLE_1)
	s_and_not1_b32 vcc_lo, exec_lo, s3
	s_cbranch_vccnz .LBB76_23
; %bb.16:
	s_xor_b32 s3, s22, -1
	s_delay_alu instid0(SALU_CYCLE_1)
	s_and_not1_b32 vcc_lo, exec_lo, s3
	;; [unrolled: 5-line block ×6, first 2 shown]
	s_cbranch_vccnz .LBB76_27
; %bb.21:
	s_xor_b32 s3, s26, -1
	s_delay_alu instid0(SALU_CYCLE_1)
	s_and_b32 vcc_lo, exec_lo, s3
	s_cbranch_vccz .LBB76_28
; %bb.22:
	s_add_i32 s10, s16, -9
	s_mov_b32 s3, 0
	s_branch .LBB76_29
.LBB76_23:
                                        ; implicit-def: $sgpr10
	s_branch .LBB76_42
.LBB76_24:
                                        ; implicit-def: $sgpr10
	s_branch .LBB76_40
.LBB76_25:
                                        ; implicit-def: $sgpr10
	s_branch .LBB76_38
.LBB76_26:
	s_mov_b32 s3, -1
                                        ; implicit-def: $sgpr10
	s_branch .LBB76_35
.LBB76_27:
	s_mov_b32 s3, -1
                                        ; implicit-def: $sgpr10
	s_branch .LBB76_32
.LBB76_28:
	s_mov_b32 s3, -1
                                        ; implicit-def: $sgpr10
.LBB76_29:
	s_delay_alu instid0(SALU_CYCLE_1)
	s_and_not1_b32 vcc_lo, exec_lo, s3
	s_cbranch_vccnz .LBB76_31
; %bb.30:
	s_mov_b32 s10, s14
.LBB76_31:
	s_mov_b32 s3, 0
.LBB76_32:
	s_delay_alu instid0(SALU_CYCLE_1)
	s_and_not1_b32 vcc_lo, exec_lo, s3
	s_cbranch_vccnz .LBB76_34
; %bb.33:
	s_mov_b32 s10, s12
.LBB76_34:
	s_mov_b32 s3, 0
.LBB76_35:
	s_delay_alu instid0(SALU_CYCLE_1)
	s_and_not1_b32 vcc_lo, exec_lo, s3
	s_cbranch_vccnz .LBB76_37
; %bb.36:
	s_mov_b32 s10, s8
.LBB76_37:
	s_cbranch_execnz .LBB76_39
.LBB76_38:
	s_mov_b32 s10, s6
.LBB76_39:
	s_cbranch_execnz .LBB76_41
.LBB76_40:
	s_mov_b32 s10, s4
.LBB76_41:
	s_cbranch_execnz .LBB76_43
.LBB76_42:
	s_mov_b32 s10, s18
.LBB76_43:
	s_mov_b32 s3, 0
.LBB76_44:
	s_delay_alu instid0(SALU_CYCLE_1)
	s_and_not1_b32 vcc_lo, exec_lo, s3
	s_cbranch_vccnz .LBB76_46
; %bb.45:
	s_add_i32 s10, s2, -8
.LBB76_46:
	s_load_b64 s[0:1], s[0:1], 0x0
	s_cmp_gt_u32 s10, 62
	s_cselect_b32 s2, -1, 0
	s_delay_alu instid0(SALU_CYCLE_1)
	v_cndmask_b32_e64 v1, 0, 1, s2
	s_waitcnt lgkmcnt(0)
	global_store_b8 v0, v1, s[0:1]
	s_nop 0
	s_sendmsg sendmsg(MSG_DEALLOC_VGPRS)
	s_endpgm
	.section	.rodata,"a",@progbits
	.p2align	6, 0x0
	.amdhsa_kernel _Z21device_test_warp_maskILj27EEvP10TestStatus
		.amdhsa_group_segment_fixed_size 0
		.amdhsa_private_segment_fixed_size 0
		.amdhsa_kernarg_size 8
		.amdhsa_user_sgpr_count 15
		.amdhsa_user_sgpr_dispatch_ptr 0
		.amdhsa_user_sgpr_queue_ptr 0
		.amdhsa_user_sgpr_kernarg_segment_ptr 1
		.amdhsa_user_sgpr_dispatch_id 0
		.amdhsa_user_sgpr_private_segment_size 0
		.amdhsa_wavefront_size32 1
		.amdhsa_uses_dynamic_stack 0
		.amdhsa_enable_private_segment 0
		.amdhsa_system_sgpr_workgroup_id_x 1
		.amdhsa_system_sgpr_workgroup_id_y 0
		.amdhsa_system_sgpr_workgroup_id_z 0
		.amdhsa_system_sgpr_workgroup_info 0
		.amdhsa_system_vgpr_workitem_id 0
		.amdhsa_next_free_vgpr 2
		.amdhsa_next_free_sgpr 29
		.amdhsa_reserve_vcc 1
		.amdhsa_float_round_mode_32 0
		.amdhsa_float_round_mode_16_64 0
		.amdhsa_float_denorm_mode_32 3
		.amdhsa_float_denorm_mode_16_64 3
		.amdhsa_dx10_clamp 1
		.amdhsa_ieee_mode 1
		.amdhsa_fp16_overflow 0
		.amdhsa_workgroup_processor_mode 1
		.amdhsa_memory_ordered 1
		.amdhsa_forward_progress 0
		.amdhsa_shared_vgpr_count 0
		.amdhsa_exception_fp_ieee_invalid_op 0
		.amdhsa_exception_fp_denorm_src 0
		.amdhsa_exception_fp_ieee_div_zero 0
		.amdhsa_exception_fp_ieee_overflow 0
		.amdhsa_exception_fp_ieee_underflow 0
		.amdhsa_exception_fp_ieee_inexact 0
		.amdhsa_exception_int_div_zero 0
	.end_amdhsa_kernel
	.section	.text._Z21device_test_warp_maskILj27EEvP10TestStatus,"axG",@progbits,_Z21device_test_warp_maskILj27EEvP10TestStatus,comdat
.Lfunc_end76:
	.size	_Z21device_test_warp_maskILj27EEvP10TestStatus, .Lfunc_end76-_Z21device_test_warp_maskILj27EEvP10TestStatus
                                        ; -- End function
	.section	.AMDGPU.csdata,"",@progbits
; Kernel info:
; codeLenInByte = 692
; NumSgprs: 31
; NumVgprs: 2
; ScratchSize: 0
; MemoryBound: 0
; FloatMode: 240
; IeeeMode: 1
; LDSByteSize: 0 bytes/workgroup (compile time only)
; SGPRBlocks: 3
; VGPRBlocks: 0
; NumSGPRsForWavesPerEU: 31
; NumVGPRsForWavesPerEU: 2
; Occupancy: 16
; WaveLimiterHint : 0
; COMPUTE_PGM_RSRC2:SCRATCH_EN: 0
; COMPUTE_PGM_RSRC2:USER_SGPR: 15
; COMPUTE_PGM_RSRC2:TRAP_HANDLER: 0
; COMPUTE_PGM_RSRC2:TGID_X_EN: 1
; COMPUTE_PGM_RSRC2:TGID_Y_EN: 0
; COMPUTE_PGM_RSRC2:TGID_Z_EN: 0
; COMPUTE_PGM_RSRC2:TIDIG_COMP_CNT: 0
	.section	.text._Z21device_test_warp_maskILj28EEvP10TestStatus,"axG",@progbits,_Z21device_test_warp_maskILj28EEvP10TestStatus,comdat
	.protected	_Z21device_test_warp_maskILj28EEvP10TestStatus ; -- Begin function _Z21device_test_warp_maskILj28EEvP10TestStatus
	.globl	_Z21device_test_warp_maskILj28EEvP10TestStatus
	.p2align	8
	.type	_Z21device_test_warp_maskILj28EEvP10TestStatus,@function
_Z21device_test_warp_maskILj28EEvP10TestStatus: ; @_Z21device_test_warp_maskILj28EEvP10TestStatus
; %bb.0:
	s_mov_b32 s28, 28
	s_mov_b64 s[26:27], 29
	s_mov_b32 s13, 0
	s_branch .LBB77_4
.LBB77_1:                               ;   in Loop: Header=BB77_4 Depth=1
	s_add_i32 s5, s2, 11
	s_delay_alu instid0(SALU_CYCLE_1) | instskip(NEXT) | instid1(SALU_CYCLE_1)
	s_lshl_b64 s[26:27], 1, s5
	s_and_b32 s12, s26, 0x1111110
	s_delay_alu instid0(SALU_CYCLE_1)
	s_cmp_lg_u64 s[12:13], 0
                                        ; implicit-def: $sgpr12
	s_cselect_b32 s42, -1, 0
	s_add_u32 s26, s2, 12
	s_addc_u32 s27, s3, 0
	s_add_i32 s28, s28, 12
.LBB77_2:                               ;   in Loop: Header=BB77_4 Depth=1
	s_mov_b32 s41, 0
.LBB77_3:                               ;   in Loop: Header=BB77_4 Depth=1
	s_and_b32 vcc_lo, exec_lo, s42
	s_cbranch_vccnz .LBB77_17
.LBB77_4:                               ; =>This Inner Loop Header: Depth=1
	s_mov_b64 s[2:3], s[26:27]
	s_mov_b32 s29, -1
	s_lshl_b64 s[4:5], 1, s2
	s_mov_b32 s37, 0
	s_and_b32 s12, s4, 0x2222222
	s_mov_b32 s41, 0
	s_cmp_lg_u64 s[12:13], 0
	s_mov_b32 s40, 0
	s_mov_b32 s39, 0
	;; [unrolled: 1-line block ×9, first 2 shown]
	s_mov_b32 s42, -1
                                        ; implicit-def: $sgpr26_sgpr27
                                        ; implicit-def: $sgpr12
                                        ; implicit-def: $sgpr4_sgpr5
                                        ; implicit-def: $sgpr6_sgpr7
                                        ; implicit-def: $sgpr8_sgpr9
                                        ; implicit-def: $sgpr10_sgpr11
                                        ; implicit-def: $sgpr14_sgpr15
                                        ; implicit-def: $sgpr16_sgpr17
                                        ; implicit-def: $sgpr18_sgpr19
                                        ; implicit-def: $sgpr20_sgpr21
                                        ; implicit-def: $sgpr22_sgpr23
                                        ; implicit-def: $sgpr24_sgpr25
	s_cbranch_scc1 .LBB77_3
; %bb.5:                                ;   in Loop: Header=BB77_4 Depth=1
	s_add_u32 s4, s2, 1
	s_mov_b32 s30, -1
	s_lshl_b64 s[6:7], 1, s4
	s_mov_b32 s29, 0
	s_and_b32 s12, s6, 0x4444444
                                        ; implicit-def: $sgpr26_sgpr27
                                        ; implicit-def: $sgpr6_sgpr7
                                        ; implicit-def: $sgpr8_sgpr9
                                        ; implicit-def: $sgpr10_sgpr11
                                        ; implicit-def: $sgpr14_sgpr15
                                        ; implicit-def: $sgpr16_sgpr17
                                        ; implicit-def: $sgpr18_sgpr19
                                        ; implicit-def: $sgpr20_sgpr21
                                        ; implicit-def: $sgpr22_sgpr23
                                        ; implicit-def: $sgpr24_sgpr25
	s_delay_alu instid0(SALU_CYCLE_1)
	s_cmp_eq_u64 s[12:13], 0
                                        ; implicit-def: $sgpr12
	s_cbranch_scc0 .LBB77_3
; %bb.6:                                ;   in Loop: Header=BB77_4 Depth=1
	s_add_u32 s6, s2, 2
	s_mov_b32 s31, -1
	s_lshl_b64 s[8:9], 1, s6
	s_mov_b32 s30, 0
	s_and_b32 s12, s8, 0x8888888
                                        ; implicit-def: $sgpr26_sgpr27
                                        ; implicit-def: $sgpr8_sgpr9
                                        ; implicit-def: $sgpr10_sgpr11
                                        ; implicit-def: $sgpr14_sgpr15
                                        ; implicit-def: $sgpr16_sgpr17
                                        ; implicit-def: $sgpr18_sgpr19
                                        ; implicit-def: $sgpr20_sgpr21
                                        ; implicit-def: $sgpr22_sgpr23
                                        ; implicit-def: $sgpr24_sgpr25
	s_delay_alu instid0(SALU_CYCLE_1)
	s_cmp_eq_u64 s[12:13], 0
                                        ; implicit-def: $sgpr12
	s_cbranch_scc0 .LBB77_3
; %bb.7:                                ;   in Loop: Header=BB77_4 Depth=1
	s_add_u32 s8, s2, 3
	s_mov_b32 s33, -1
	s_lshl_b64 s[10:11], 1, s8
	s_mov_b32 s31, 0
	s_and_b32 s12, s10, 0x1111110
                                        ; implicit-def: $sgpr26_sgpr27
                                        ; implicit-def: $sgpr10_sgpr11
                                        ; implicit-def: $sgpr14_sgpr15
                                        ; implicit-def: $sgpr16_sgpr17
                                        ; implicit-def: $sgpr18_sgpr19
                                        ; implicit-def: $sgpr20_sgpr21
                                        ; implicit-def: $sgpr22_sgpr23
                                        ; implicit-def: $sgpr24_sgpr25
	s_delay_alu instid0(SALU_CYCLE_1)
	s_cmp_eq_u64 s[12:13], 0
                                        ; implicit-def: $sgpr12
	s_cbranch_scc0 .LBB77_3
; %bb.8:                                ;   in Loop: Header=BB77_4 Depth=1
	s_add_u32 s10, s2, 4
	s_mov_b32 s34, -1
	s_lshl_b64 s[14:15], 1, s10
	s_mov_b32 s33, 0
	s_and_b32 s12, s14, 0x2222222
                                        ; implicit-def: $sgpr26_sgpr27
                                        ; implicit-def: $sgpr14_sgpr15
                                        ; implicit-def: $sgpr16_sgpr17
                                        ; implicit-def: $sgpr18_sgpr19
                                        ; implicit-def: $sgpr20_sgpr21
                                        ; implicit-def: $sgpr22_sgpr23
                                        ; implicit-def: $sgpr24_sgpr25
	s_delay_alu instid0(SALU_CYCLE_1)
	s_cmp_eq_u64 s[12:13], 0
                                        ; implicit-def: $sgpr12
	s_cbranch_scc0 .LBB77_3
; %bb.9:                                ;   in Loop: Header=BB77_4 Depth=1
	s_add_u32 s14, s2, 5
	s_mov_b32 s35, -1
	s_lshl_b64 s[16:17], 1, s14
	s_mov_b32 s34, 0
	s_and_b32 s12, s16, 0x4444444
                                        ; implicit-def: $sgpr26_sgpr27
                                        ; implicit-def: $sgpr16_sgpr17
                                        ; implicit-def: $sgpr18_sgpr19
                                        ; implicit-def: $sgpr20_sgpr21
                                        ; implicit-def: $sgpr22_sgpr23
                                        ; implicit-def: $sgpr24_sgpr25
	s_delay_alu instid0(SALU_CYCLE_1)
	s_cmp_eq_u64 s[12:13], 0
                                        ; implicit-def: $sgpr12
	s_cbranch_scc0 .LBB77_3
; %bb.10:                               ;   in Loop: Header=BB77_4 Depth=1
	s_add_u32 s16, s2, 6
	s_mov_b32 s36, -1
	s_lshl_b64 s[18:19], 1, s16
	s_mov_b32 s35, 0
	s_and_b32 s12, s18, 0x8888888
                                        ; implicit-def: $sgpr26_sgpr27
                                        ; implicit-def: $sgpr18_sgpr19
                                        ; implicit-def: $sgpr20_sgpr21
                                        ; implicit-def: $sgpr22_sgpr23
                                        ; implicit-def: $sgpr24_sgpr25
	s_delay_alu instid0(SALU_CYCLE_1)
	s_cmp_eq_u64 s[12:13], 0
                                        ; implicit-def: $sgpr12
	s_cbranch_scc0 .LBB77_3
; %bb.11:                               ;   in Loop: Header=BB77_4 Depth=1
	s_add_u32 s18, s2, 7
	s_mov_b32 s38, -1
	s_lshl_b64 s[20:21], 1, s18
	s_mov_b32 s36, 0
	s_and_b32 s12, s20, 0x1111110
                                        ; implicit-def: $sgpr26_sgpr27
                                        ; implicit-def: $sgpr20_sgpr21
                                        ; implicit-def: $sgpr22_sgpr23
                                        ; implicit-def: $sgpr24_sgpr25
	s_delay_alu instid0(SALU_CYCLE_1)
	s_cmp_eq_u64 s[12:13], 0
                                        ; implicit-def: $sgpr12
	s_cbranch_scc0 .LBB77_3
; %bb.12:                               ;   in Loop: Header=BB77_4 Depth=1
	s_add_u32 s20, s2, 8
	s_mov_b32 s39, -1
	s_lshl_b64 s[22:23], 1, s20
	s_mov_b32 s38, 0
	s_and_b32 s12, s22, 0x2222222
                                        ; implicit-def: $sgpr26_sgpr27
                                        ; implicit-def: $sgpr22_sgpr23
                                        ; implicit-def: $sgpr24_sgpr25
	s_delay_alu instid0(SALU_CYCLE_1)
	s_cmp_eq_u64 s[12:13], 0
                                        ; implicit-def: $sgpr12
	s_cbranch_scc0 .LBB77_3
; %bb.13:                               ;   in Loop: Header=BB77_4 Depth=1
	s_add_u32 s22, s2, 9
	s_mov_b32 s40, -1
	s_lshl_b64 s[24:25], 1, s22
	s_mov_b32 s39, 0
	s_and_b32 s12, s24, 0x4444444
                                        ; implicit-def: $sgpr26_sgpr27
                                        ; implicit-def: $sgpr24_sgpr25
	s_delay_alu instid0(SALU_CYCLE_1)
	s_cmp_eq_u64 s[12:13], 0
                                        ; implicit-def: $sgpr12
	s_cbranch_scc0 .LBB77_3
; %bb.14:                               ;   in Loop: Header=BB77_4 Depth=1
	s_add_u32 s24, s2, 10
	s_mov_b32 s41, -1
	s_lshl_b64 s[26:27], 1, s24
	s_mov_b32 s40, 0
	s_and_b32 s12, s26, 0x8888888
                                        ; implicit-def: $sgpr26_sgpr27
	s_delay_alu instid0(SALU_CYCLE_1)
	s_cmp_eq_u64 s[12:13], 0
                                        ; implicit-def: $sgpr12
	s_cbranch_scc0 .LBB77_3
; %bb.15:                               ;   in Loop: Header=BB77_4 Depth=1
	s_cmp_lg_u32 s2, 53
	s_cbranch_scc1 .LBB77_1
; %bb.16:                               ;   in Loop: Header=BB77_4 Depth=1
	s_add_i32 s12, s28, 11
	s_mov_b32 s37, -1
                                        ; implicit-def: $sgpr28
                                        ; implicit-def: $sgpr26_sgpr27
	s_branch .LBB77_2
.LBB77_17:
	s_and_b32 vcc_lo, exec_lo, s29
	s_mov_b32 s3, -1
	s_cbranch_vccnz .LBB77_68
; %bb.18:
	s_xor_b32 s3, s30, -1
	s_delay_alu instid0(SALU_CYCLE_1)
	s_and_not1_b32 vcc_lo, exec_lo, s3
	s_cbranch_vccnz .LBB77_31
; %bb.19:
	s_xor_b32 s3, s31, -1
	s_delay_alu instid0(SALU_CYCLE_1)
	s_and_not1_b32 vcc_lo, exec_lo, s3
	;; [unrolled: 5-line block ×10, first 2 shown]
	s_cbranch_vccnz .LBB77_40
; %bb.28:
	s_xor_b32 s3, s37, -1
	s_delay_alu instid0(SALU_CYCLE_1)
	s_and_b32 vcc_lo, exec_lo, s3
	s_cbranch_vccz .LBB77_30
; %bb.29:
	s_mov_b32 s12, s24
.LBB77_30:
	s_mov_b32 s3, 0
	s_branch .LBB77_41
.LBB77_31:
                                        ; implicit-def: $sgpr12
	s_branch .LBB77_66
.LBB77_32:
                                        ; implicit-def: $sgpr12
	s_branch .LBB77_64
.LBB77_33:
                                        ; implicit-def: $sgpr12
	s_branch .LBB77_62
.LBB77_34:
	s_mov_b32 s3, -1
                                        ; implicit-def: $sgpr12
	s_branch .LBB77_59
.LBB77_35:
	s_mov_b32 s3, -1
                                        ; implicit-def: $sgpr12
	s_branch .LBB77_56
.LBB77_36:
	s_mov_b32 s3, -1
                                        ; implicit-def: $sgpr12
	s_branch .LBB77_53
.LBB77_37:
	s_mov_b32 s3, -1
                                        ; implicit-def: $sgpr12
	s_branch .LBB77_50
.LBB77_38:
	s_mov_b32 s3, -1
                                        ; implicit-def: $sgpr12
	s_branch .LBB77_47
.LBB77_39:
	s_mov_b32 s3, -1
                                        ; implicit-def: $sgpr12
	s_branch .LBB77_44
.LBB77_40:
	s_mov_b32 s3, -1
                                        ; implicit-def: $sgpr12
.LBB77_41:
	s_delay_alu instid0(SALU_CYCLE_1)
	s_and_not1_b32 vcc_lo, exec_lo, s3
	s_cbranch_vccnz .LBB77_43
; %bb.42:
	s_mov_b32 s12, s22
.LBB77_43:
	s_mov_b32 s3, 0
.LBB77_44:
	s_delay_alu instid0(SALU_CYCLE_1)
	s_and_not1_b32 vcc_lo, exec_lo, s3
	s_cbranch_vccnz .LBB77_46
; %bb.45:
	s_mov_b32 s12, s20
.LBB77_46:
	s_mov_b32 s3, 0
.LBB77_47:
	s_delay_alu instid0(SALU_CYCLE_1)
	s_and_not1_b32 vcc_lo, exec_lo, s3
	s_cbranch_vccnz .LBB77_49
; %bb.48:
	s_mov_b32 s12, s18
.LBB77_49:
	s_mov_b32 s3, 0
.LBB77_50:
	s_delay_alu instid0(SALU_CYCLE_1)
	s_and_not1_b32 vcc_lo, exec_lo, s3
	s_cbranch_vccnz .LBB77_52
; %bb.51:
	s_mov_b32 s12, s16
.LBB77_52:
	s_mov_b32 s3, 0
.LBB77_53:
	s_delay_alu instid0(SALU_CYCLE_1)
	s_and_not1_b32 vcc_lo, exec_lo, s3
	s_cbranch_vccnz .LBB77_55
; %bb.54:
	s_mov_b32 s12, s14
.LBB77_55:
	s_mov_b32 s3, 0
.LBB77_56:
	s_delay_alu instid0(SALU_CYCLE_1)
	s_and_not1_b32 vcc_lo, exec_lo, s3
	s_cbranch_vccnz .LBB77_58
; %bb.57:
	s_mov_b32 s12, s10
.LBB77_58:
	s_mov_b32 s3, 0
.LBB77_59:
	s_delay_alu instid0(SALU_CYCLE_1)
	s_and_not1_b32 vcc_lo, exec_lo, s3
	s_cbranch_vccnz .LBB77_61
; %bb.60:
	s_mov_b32 s12, s8
.LBB77_61:
	s_cbranch_execnz .LBB77_63
.LBB77_62:
	s_mov_b32 s12, s6
.LBB77_63:
	s_cbranch_execnz .LBB77_65
.LBB77_64:
	s_mov_b32 s12, s4
.LBB77_65:
	s_cbranch_execnz .LBB77_67
.LBB77_66:
	s_mov_b32 s12, s2
.LBB77_67:
	s_mov_b32 s3, 0
.LBB77_68:
	s_delay_alu instid0(SALU_CYCLE_1)
	s_and_not1_b32 vcc_lo, exec_lo, s3
	s_cbranch_vccnz .LBB77_70
; %bb.69:
	s_add_i32 s12, s2, -1
.LBB77_70:
	s_load_b64 s[0:1], s[0:1], 0x0
	s_cmp_gt_u32 s12, 62
	s_cselect_b32 s2, -1, 0
	s_delay_alu instid0(SALU_CYCLE_1)
	v_cndmask_b32_e64 v1, 0, 1, s2
	s_waitcnt lgkmcnt(0)
	global_store_b8 v0, v1, s[0:1]
	s_nop 0
	s_sendmsg sendmsg(MSG_DEALLOC_VGPRS)
	s_endpgm
	.section	.rodata,"a",@progbits
	.p2align	6, 0x0
	.amdhsa_kernel _Z21device_test_warp_maskILj28EEvP10TestStatus
		.amdhsa_group_segment_fixed_size 0
		.amdhsa_private_segment_fixed_size 0
		.amdhsa_kernarg_size 8
		.amdhsa_user_sgpr_count 15
		.amdhsa_user_sgpr_dispatch_ptr 0
		.amdhsa_user_sgpr_queue_ptr 0
		.amdhsa_user_sgpr_kernarg_segment_ptr 1
		.amdhsa_user_sgpr_dispatch_id 0
		.amdhsa_user_sgpr_private_segment_size 0
		.amdhsa_wavefront_size32 1
		.amdhsa_uses_dynamic_stack 0
		.amdhsa_enable_private_segment 0
		.amdhsa_system_sgpr_workgroup_id_x 1
		.amdhsa_system_sgpr_workgroup_id_y 0
		.amdhsa_system_sgpr_workgroup_id_z 0
		.amdhsa_system_sgpr_workgroup_info 0
		.amdhsa_system_vgpr_workitem_id 0
		.amdhsa_next_free_vgpr 2
		.amdhsa_next_free_sgpr 43
		.amdhsa_reserve_vcc 1
		.amdhsa_float_round_mode_32 0
		.amdhsa_float_round_mode_16_64 0
		.amdhsa_float_denorm_mode_32 3
		.amdhsa_float_denorm_mode_16_64 3
		.amdhsa_dx10_clamp 1
		.amdhsa_ieee_mode 1
		.amdhsa_fp16_overflow 0
		.amdhsa_workgroup_processor_mode 1
		.amdhsa_memory_ordered 1
		.amdhsa_forward_progress 0
		.amdhsa_shared_vgpr_count 0
		.amdhsa_exception_fp_ieee_invalid_op 0
		.amdhsa_exception_fp_denorm_src 0
		.amdhsa_exception_fp_ieee_div_zero 0
		.amdhsa_exception_fp_ieee_overflow 0
		.amdhsa_exception_fp_ieee_underflow 0
		.amdhsa_exception_fp_ieee_inexact 0
		.amdhsa_exception_int_div_zero 0
	.end_amdhsa_kernel
	.section	.text._Z21device_test_warp_maskILj28EEvP10TestStatus,"axG",@progbits,_Z21device_test_warp_maskILj28EEvP10TestStatus,comdat
.Lfunc_end77:
	.size	_Z21device_test_warp_maskILj28EEvP10TestStatus, .Lfunc_end77-_Z21device_test_warp_maskILj28EEvP10TestStatus
                                        ; -- End function
	.section	.AMDGPU.csdata,"",@progbits
; Kernel info:
; codeLenInByte = 1024
; NumSgprs: 45
; NumVgprs: 2
; ScratchSize: 0
; MemoryBound: 0
; FloatMode: 240
; IeeeMode: 1
; LDSByteSize: 0 bytes/workgroup (compile time only)
; SGPRBlocks: 5
; VGPRBlocks: 0
; NumSGPRsForWavesPerEU: 45
; NumVGPRsForWavesPerEU: 2
; Occupancy: 16
; WaveLimiterHint : 0
; COMPUTE_PGM_RSRC2:SCRATCH_EN: 0
; COMPUTE_PGM_RSRC2:USER_SGPR: 15
; COMPUTE_PGM_RSRC2:TRAP_HANDLER: 0
; COMPUTE_PGM_RSRC2:TGID_X_EN: 1
; COMPUTE_PGM_RSRC2:TGID_Y_EN: 0
; COMPUTE_PGM_RSRC2:TGID_Z_EN: 0
; COMPUTE_PGM_RSRC2:TIDIG_COMP_CNT: 0
	.section	.text._Z21device_test_warp_maskILj29EEvP10TestStatus,"axG",@progbits,_Z21device_test_warp_maskILj29EEvP10TestStatus,comdat
	.protected	_Z21device_test_warp_maskILj29EEvP10TestStatus ; -- Begin function _Z21device_test_warp_maskILj29EEvP10TestStatus
	.globl	_Z21device_test_warp_maskILj29EEvP10TestStatus
	.p2align	8
	.type	_Z21device_test_warp_maskILj29EEvP10TestStatus,@function
_Z21device_test_warp_maskILj29EEvP10TestStatus: ; @_Z21device_test_warp_maskILj29EEvP10TestStatus
; %bb.0:
	s_mov_b32 s19, 29
	s_mov_b64 s[16:17], 36
	s_mov_b32 s9, 0
	s_branch .LBB78_3
.LBB78_1:                               ;   in Loop: Header=BB78_3 Depth=1
	s_mov_b32 s27, 0
.LBB78_2:                               ;   in Loop: Header=BB78_3 Depth=1
	s_and_b32 vcc_lo, exec_lo, s8
	s_cbranch_vccnz .LBB78_11
.LBB78_3:                               ; =>This Inner Loop Header: Depth=1
	s_mov_b64 s[2:3], s[16:17]
	s_mov_b32 s21, -1
	s_add_u32 s18, s2, -6
	s_mov_b32 s26, 0
	s_lshl_b64 s[4:5], 1, s18
	s_mov_b32 s27, 0
	s_and_b32 s8, s4, 0x1ffffffe
	s_mov_b32 s25, 0
	s_cmp_lg_u64 s[8:9], 0
	s_mov_b32 s24, 0
	s_mov_b32 s23, 0
	;; [unrolled: 1-line block ×3, first 2 shown]
	s_mov_b32 s8, -1
                                        ; implicit-def: $sgpr16_sgpr17
                                        ; implicit-def: $sgpr20
                                        ; implicit-def: $sgpr4_sgpr5
                                        ; implicit-def: $sgpr6_sgpr7
                                        ; implicit-def: $sgpr10_sgpr11
                                        ; implicit-def: $sgpr12_sgpr13
                                        ; implicit-def: $sgpr14_sgpr15
	s_cbranch_scc1 .LBB78_2
; %bb.4:                                ;   in Loop: Header=BB78_3 Depth=1
	s_add_u32 s4, s2, -5
	s_mov_b32 s22, -1
	s_lshl_b64 s[6:7], 1, s4
	s_mov_b32 s21, 0
	s_and_b32 s8, s6, 0x1ffffffe
                                        ; implicit-def: $sgpr16_sgpr17
                                        ; implicit-def: $sgpr20
                                        ; implicit-def: $sgpr6_sgpr7
                                        ; implicit-def: $sgpr10_sgpr11
                                        ; implicit-def: $sgpr12_sgpr13
                                        ; implicit-def: $sgpr14_sgpr15
	s_delay_alu instid0(SALU_CYCLE_1)
	s_cmp_eq_u64 s[8:9], 0
	s_mov_b32 s8, -1
	s_cbranch_scc0 .LBB78_2
; %bb.5:                                ;   in Loop: Header=BB78_3 Depth=1
	s_add_u32 s6, s2, -4
	s_mov_b32 s23, -1
	s_lshl_b64 s[10:11], 1, s6
	s_mov_b32 s22, 0
	s_and_b32 s8, s10, 0x1ffffffe
                                        ; implicit-def: $sgpr16_sgpr17
                                        ; implicit-def: $sgpr20
                                        ; implicit-def: $sgpr10_sgpr11
                                        ; implicit-def: $sgpr12_sgpr13
                                        ; implicit-def: $sgpr14_sgpr15
	s_delay_alu instid0(SALU_CYCLE_1)
	s_cmp_eq_u64 s[8:9], 0
	s_mov_b32 s8, -1
	s_cbranch_scc0 .LBB78_2
; %bb.6:                                ;   in Loop: Header=BB78_3 Depth=1
	s_add_u32 s10, s2, -3
	s_mov_b32 s24, -1
	s_lshl_b64 s[12:13], 1, s10
	s_mov_b32 s23, 0
	s_and_b32 s8, s12, 0x1ffffffe
                                        ; implicit-def: $sgpr16_sgpr17
                                        ; implicit-def: $sgpr20
                                        ; implicit-def: $sgpr12_sgpr13
                                        ; implicit-def: $sgpr14_sgpr15
	s_delay_alu instid0(SALU_CYCLE_1)
	s_cmp_eq_u64 s[8:9], 0
	s_mov_b32 s8, -1
	s_cbranch_scc0 .LBB78_2
; %bb.7:                                ;   in Loop: Header=BB78_3 Depth=1
	s_add_u32 s12, s2, -2
	s_mov_b32 s25, -1
	s_lshl_b64 s[14:15], 1, s12
	s_mov_b32 s24, 0
	s_and_b32 s8, s14, 0x1ffffffe
                                        ; implicit-def: $sgpr16_sgpr17
                                        ; implicit-def: $sgpr20
                                        ; implicit-def: $sgpr14_sgpr15
	s_delay_alu instid0(SALU_CYCLE_1)
	s_cmp_eq_u64 s[8:9], 0
	s_mov_b32 s8, -1
	s_cbranch_scc0 .LBB78_2
; %bb.8:                                ;   in Loop: Header=BB78_3 Depth=1
	s_add_u32 s14, s2, -1
	s_mov_b32 s27, -1
	s_lshl_b64 s[16:17], 1, s14
	s_mov_b32 s25, 0
	s_and_b32 s8, s16, 0x1ffffffe
                                        ; implicit-def: $sgpr16_sgpr17
                                        ; implicit-def: $sgpr20
	s_delay_alu instid0(SALU_CYCLE_1)
	s_cmp_eq_u64 s[8:9], 0
	s_mov_b32 s8, -1
	s_cbranch_scc0 .LBB78_2
; %bb.9:                                ;   in Loop: Header=BB78_3 Depth=1
	s_mov_b32 s26, -1
	s_cmp_lg_u32 s2, 64
                                        ; implicit-def: $sgpr16_sgpr17
                                        ; implicit-def: $sgpr20
	s_cbranch_scc0 .LBB78_1
; %bb.10:                               ;   in Loop: Header=BB78_3 Depth=1
	s_lshl_b64 s[16:17], 1, s2
	s_add_i32 s20, s19, 6
	s_and_b32 s8, s16, 0x1ffffffe
	s_mov_b32 s26, 0
	s_cmp_lg_u64 s[8:9], 0
	s_cselect_b32 s8, -1, 0
	s_add_u32 s16, s2, 7
	s_addc_u32 s17, s3, 0
	s_add_i32 s19, s19, 7
	s_branch .LBB78_1
.LBB78_11:
	s_and_b32 vcc_lo, exec_lo, s21
	s_mov_b32 s3, -1
	s_cbranch_vccnz .LBB78_37
; %bb.12:
	s_xor_b32 s3, s22, -1
	s_delay_alu instid0(SALU_CYCLE_1)
	s_and_not1_b32 vcc_lo, exec_lo, s3
	s_cbranch_vccnz .LBB78_20
; %bb.13:
	s_xor_b32 s3, s23, -1
	s_delay_alu instid0(SALU_CYCLE_1)
	s_and_not1_b32 vcc_lo, exec_lo, s3
	;; [unrolled: 5-line block ×5, first 2 shown]
	s_cbranch_vccnz .LBB78_24
; %bb.17:
	s_and_b32 vcc_lo, exec_lo, s26
	s_cbranch_vccz .LBB78_19
; %bb.18:
	s_mov_b32 s20, s14
.LBB78_19:
	s_mov_b32 s3, 0
	s_branch .LBB78_25
.LBB78_20:
                                        ; implicit-def: $sgpr20
	s_branch .LBB78_35
.LBB78_21:
                                        ; implicit-def: $sgpr20
	s_branch .LBB78_33
.LBB78_22:
                                        ; implicit-def: $sgpr20
	s_branch .LBB78_31
.LBB78_23:
	s_mov_b32 s3, -1
                                        ; implicit-def: $sgpr20
	s_branch .LBB78_28
.LBB78_24:
	s_mov_b32 s3, -1
                                        ; implicit-def: $sgpr20
.LBB78_25:
	s_delay_alu instid0(SALU_CYCLE_1)
	s_and_not1_b32 vcc_lo, exec_lo, s3
	s_cbranch_vccnz .LBB78_27
; %bb.26:
	s_mov_b32 s20, s12
.LBB78_27:
	s_mov_b32 s3, 0
.LBB78_28:
	s_delay_alu instid0(SALU_CYCLE_1)
	s_and_not1_b32 vcc_lo, exec_lo, s3
	s_cbranch_vccnz .LBB78_30
; %bb.29:
	s_mov_b32 s20, s10
.LBB78_30:
	s_cbranch_execnz .LBB78_32
.LBB78_31:
	s_mov_b32 s20, s6
.LBB78_32:
	s_cbranch_execnz .LBB78_34
.LBB78_33:
	s_mov_b32 s20, s4
.LBB78_34:
	s_cbranch_execnz .LBB78_36
.LBB78_35:
	s_mov_b32 s20, s18
.LBB78_36:
	s_mov_b32 s3, 0
.LBB78_37:
	s_delay_alu instid0(SALU_CYCLE_1)
	s_and_not1_b32 vcc_lo, exec_lo, s3
	s_cbranch_vccnz .LBB78_39
; %bb.38:
	s_add_i32 s20, s2, -7
.LBB78_39:
	s_load_b64 s[0:1], s[0:1], 0x0
	s_cmp_gt_u32 s20, 62
	s_cselect_b32 s2, -1, 0
	s_delay_alu instid0(SALU_CYCLE_1)
	v_cndmask_b32_e64 v1, 0, 1, s2
	s_waitcnt lgkmcnt(0)
	global_store_b8 v0, v1, s[0:1]
	s_nop 0
	s_sendmsg sendmsg(MSG_DEALLOC_VGPRS)
	s_endpgm
	.section	.rodata,"a",@progbits
	.p2align	6, 0x0
	.amdhsa_kernel _Z21device_test_warp_maskILj29EEvP10TestStatus
		.amdhsa_group_segment_fixed_size 0
		.amdhsa_private_segment_fixed_size 0
		.amdhsa_kernarg_size 8
		.amdhsa_user_sgpr_count 15
		.amdhsa_user_sgpr_dispatch_ptr 0
		.amdhsa_user_sgpr_queue_ptr 0
		.amdhsa_user_sgpr_kernarg_segment_ptr 1
		.amdhsa_user_sgpr_dispatch_id 0
		.amdhsa_user_sgpr_private_segment_size 0
		.amdhsa_wavefront_size32 1
		.amdhsa_uses_dynamic_stack 0
		.amdhsa_enable_private_segment 0
		.amdhsa_system_sgpr_workgroup_id_x 1
		.amdhsa_system_sgpr_workgroup_id_y 0
		.amdhsa_system_sgpr_workgroup_id_z 0
		.amdhsa_system_sgpr_workgroup_info 0
		.amdhsa_system_vgpr_workitem_id 0
		.amdhsa_next_free_vgpr 2
		.amdhsa_next_free_sgpr 28
		.amdhsa_reserve_vcc 1
		.amdhsa_float_round_mode_32 0
		.amdhsa_float_round_mode_16_64 0
		.amdhsa_float_denorm_mode_32 3
		.amdhsa_float_denorm_mode_16_64 3
		.amdhsa_dx10_clamp 1
		.amdhsa_ieee_mode 1
		.amdhsa_fp16_overflow 0
		.amdhsa_workgroup_processor_mode 1
		.amdhsa_memory_ordered 1
		.amdhsa_forward_progress 0
		.amdhsa_shared_vgpr_count 0
		.amdhsa_exception_fp_ieee_invalid_op 0
		.amdhsa_exception_fp_denorm_src 0
		.amdhsa_exception_fp_ieee_div_zero 0
		.amdhsa_exception_fp_ieee_overflow 0
		.amdhsa_exception_fp_ieee_underflow 0
		.amdhsa_exception_fp_ieee_inexact 0
		.amdhsa_exception_int_div_zero 0
	.end_amdhsa_kernel
	.section	.text._Z21device_test_warp_maskILj29EEvP10TestStatus,"axG",@progbits,_Z21device_test_warp_maskILj29EEvP10TestStatus,comdat
.Lfunc_end78:
	.size	_Z21device_test_warp_maskILj29EEvP10TestStatus, .Lfunc_end78-_Z21device_test_warp_maskILj29EEvP10TestStatus
                                        ; -- End function
	.section	.AMDGPU.csdata,"",@progbits
; Kernel info:
; codeLenInByte = 612
; NumSgprs: 30
; NumVgprs: 2
; ScratchSize: 0
; MemoryBound: 0
; FloatMode: 240
; IeeeMode: 1
; LDSByteSize: 0 bytes/workgroup (compile time only)
; SGPRBlocks: 3
; VGPRBlocks: 0
; NumSGPRsForWavesPerEU: 30
; NumVGPRsForWavesPerEU: 2
; Occupancy: 16
; WaveLimiterHint : 0
; COMPUTE_PGM_RSRC2:SCRATCH_EN: 0
; COMPUTE_PGM_RSRC2:USER_SGPR: 15
; COMPUTE_PGM_RSRC2:TRAP_HANDLER: 0
; COMPUTE_PGM_RSRC2:TGID_X_EN: 1
; COMPUTE_PGM_RSRC2:TGID_Y_EN: 0
; COMPUTE_PGM_RSRC2:TGID_Z_EN: 0
; COMPUTE_PGM_RSRC2:TIDIG_COMP_CNT: 0
	.section	.text._Z21device_test_warp_maskILj30EEvP10TestStatus,"axG",@progbits,_Z21device_test_warp_maskILj30EEvP10TestStatus,comdat
	.protected	_Z21device_test_warp_maskILj30EEvP10TestStatus ; -- Begin function _Z21device_test_warp_maskILj30EEvP10TestStatus
	.globl	_Z21device_test_warp_maskILj30EEvP10TestStatus
	.p2align	8
	.type	_Z21device_test_warp_maskILj30EEvP10TestStatus,@function
_Z21device_test_warp_maskILj30EEvP10TestStatus: ; @_Z21device_test_warp_maskILj30EEvP10TestStatus
; %bb.0:
	s_mov_b32 s8, 30
	s_mov_b64 s[6:7], 31
	s_mov_b32 s5, 0
	s_set_inst_prefetch_distance 0x1
	s_branch .LBB79_3
	.p2align	6
.LBB79_1:                               ;   in Loop: Header=BB79_3 Depth=1
	s_mov_b32 s10, 0
.LBB79_2:                               ;   in Loop: Header=BB79_3 Depth=1
	s_and_b32 vcc_lo, exec_lo, s4
	s_cbranch_vccnz .LBB79_6
.LBB79_3:                               ; =>This Inner Loop Header: Depth=1
	s_mov_b64 s[2:3], s[6:7]
	s_mov_b32 s10, -1
	s_lshl_b64 s[6:7], 1, s2
                                        ; implicit-def: $sgpr9
	s_delay_alu instid0(SALU_CYCLE_1) | instskip(NEXT) | instid1(SALU_CYCLE_1)
	s_and_b32 s4, s6, 0x2aaaaaaa
                                        ; implicit-def: $sgpr6_sgpr7
	s_cmp_lg_u64 s[4:5], 0
	s_mov_b32 s4, -1
	s_cbranch_scc1 .LBB79_2
; %bb.4:                                ;   in Loop: Header=BB79_3 Depth=1
	s_cmp_lg_u32 s2, 63
	s_mov_b32 s9, 63
                                        ; implicit-def: $sgpr6_sgpr7
	s_cbranch_scc0 .LBB79_1
; %bb.5:                                ;   in Loop: Header=BB79_3 Depth=1
	s_add_i32 s4, s2, 1
	s_or_b32 s9, s8, 1
	s_lshl_b64 s[6:7], 1, s4
	s_delay_alu instid0(SALU_CYCLE_1) | instskip(NEXT) | instid1(SALU_CYCLE_1)
	s_and_b32 s4, s6, 0x15555554
	s_cmp_lg_u64 s[4:5], 0
	s_cselect_b32 s4, -1, 0
	s_add_u32 s6, s2, 2
	s_addc_u32 s7, s3, 0
	s_add_i32 s8, s8, 2
	s_branch .LBB79_1
.LBB79_6:
	s_set_inst_prefetch_distance 0x2
	s_and_b32 vcc_lo, exec_lo, s10
	s_cbranch_vccz .LBB79_8
; %bb.7:
	s_add_i32 s9, s2, -1
.LBB79_8:
	s_load_b64 s[0:1], s[0:1], 0x0
	s_cmp_gt_u32 s9, 62
	s_cselect_b32 s2, -1, 0
	s_delay_alu instid0(SALU_CYCLE_1)
	v_cndmask_b32_e64 v1, 0, 1, s2
	s_waitcnt lgkmcnt(0)
	global_store_b8 v0, v1, s[0:1]
	s_nop 0
	s_sendmsg sendmsg(MSG_DEALLOC_VGPRS)
	s_endpgm
	.section	.rodata,"a",@progbits
	.p2align	6, 0x0
	.amdhsa_kernel _Z21device_test_warp_maskILj30EEvP10TestStatus
		.amdhsa_group_segment_fixed_size 0
		.amdhsa_private_segment_fixed_size 0
		.amdhsa_kernarg_size 8
		.amdhsa_user_sgpr_count 15
		.amdhsa_user_sgpr_dispatch_ptr 0
		.amdhsa_user_sgpr_queue_ptr 0
		.amdhsa_user_sgpr_kernarg_segment_ptr 1
		.amdhsa_user_sgpr_dispatch_id 0
		.amdhsa_user_sgpr_private_segment_size 0
		.amdhsa_wavefront_size32 1
		.amdhsa_uses_dynamic_stack 0
		.amdhsa_enable_private_segment 0
		.amdhsa_system_sgpr_workgroup_id_x 1
		.amdhsa_system_sgpr_workgroup_id_y 0
		.amdhsa_system_sgpr_workgroup_id_z 0
		.amdhsa_system_sgpr_workgroup_info 0
		.amdhsa_system_vgpr_workitem_id 0
		.amdhsa_next_free_vgpr 2
		.amdhsa_next_free_sgpr 11
		.amdhsa_reserve_vcc 1
		.amdhsa_float_round_mode_32 0
		.amdhsa_float_round_mode_16_64 0
		.amdhsa_float_denorm_mode_32 3
		.amdhsa_float_denorm_mode_16_64 3
		.amdhsa_dx10_clamp 1
		.amdhsa_ieee_mode 1
		.amdhsa_fp16_overflow 0
		.amdhsa_workgroup_processor_mode 1
		.amdhsa_memory_ordered 1
		.amdhsa_forward_progress 0
		.amdhsa_shared_vgpr_count 0
		.amdhsa_exception_fp_ieee_invalid_op 0
		.amdhsa_exception_fp_denorm_src 0
		.amdhsa_exception_fp_ieee_div_zero 0
		.amdhsa_exception_fp_ieee_overflow 0
		.amdhsa_exception_fp_ieee_underflow 0
		.amdhsa_exception_fp_ieee_inexact 0
		.amdhsa_exception_int_div_zero 0
	.end_amdhsa_kernel
	.section	.text._Z21device_test_warp_maskILj30EEvP10TestStatus,"axG",@progbits,_Z21device_test_warp_maskILj30EEvP10TestStatus,comdat
.Lfunc_end79:
	.size	_Z21device_test_warp_maskILj30EEvP10TestStatus, .Lfunc_end79-_Z21device_test_warp_maskILj30EEvP10TestStatus
                                        ; -- End function
	.section	.AMDGPU.csdata,"",@progbits
; Kernel info:
; codeLenInByte = 196
; NumSgprs: 13
; NumVgprs: 2
; ScratchSize: 0
; MemoryBound: 0
; FloatMode: 240
; IeeeMode: 1
; LDSByteSize: 0 bytes/workgroup (compile time only)
; SGPRBlocks: 1
; VGPRBlocks: 0
; NumSGPRsForWavesPerEU: 13
; NumVGPRsForWavesPerEU: 2
; Occupancy: 16
; WaveLimiterHint : 0
; COMPUTE_PGM_RSRC2:SCRATCH_EN: 0
; COMPUTE_PGM_RSRC2:USER_SGPR: 15
; COMPUTE_PGM_RSRC2:TRAP_HANDLER: 0
; COMPUTE_PGM_RSRC2:TGID_X_EN: 1
; COMPUTE_PGM_RSRC2:TGID_Y_EN: 0
; COMPUTE_PGM_RSRC2:TGID_Z_EN: 0
; COMPUTE_PGM_RSRC2:TIDIG_COMP_CNT: 0
	.section	.text._Z21device_test_warp_maskILj31EEvP10TestStatus,"axG",@progbits,_Z21device_test_warp_maskILj31EEvP10TestStatus,comdat
	.protected	_Z21device_test_warp_maskILj31EEvP10TestStatus ; -- Begin function _Z21device_test_warp_maskILj31EEvP10TestStatus
	.globl	_Z21device_test_warp_maskILj31EEvP10TestStatus
	.p2align	8
	.type	_Z21device_test_warp_maskILj31EEvP10TestStatus,@function
_Z21device_test_warp_maskILj31EEvP10TestStatus: ; @_Z21device_test_warp_maskILj31EEvP10TestStatus
; %bb.0:
	s_mov_b32 s27, 31
	s_mov_b64 s[24:25], 42
	s_mov_b32 s13, 0
	s_branch .LBB80_3
.LBB80_1:                               ;   in Loop: Header=BB80_3 Depth=1
	s_mov_b32 s40, 0
.LBB80_2:                               ;   in Loop: Header=BB80_3 Depth=1
	s_and_b32 vcc_lo, exec_lo, s12
	s_cbranch_vccnz .LBB80_15
.LBB80_3:                               ; =>This Inner Loop Header: Depth=1
	s_mov_b64 s[2:3], s[24:25]
	s_mov_b32 s28, -1
	s_add_u32 s26, s2, -10
	s_mov_b32 s36, 0
	s_lshl_b64 s[4:5], 1, s26
	s_mov_b32 s40, 0
	s_and_b32 s12, s4, 0x7ffffffe
	s_mov_b32 s39, 0
	s_cmp_lg_u64 s[12:13], 0
	s_mov_b32 s38, 0
	s_mov_b32 s37, 0
	;; [unrolled: 1-line block ×7, first 2 shown]
	s_mov_b32 s12, -1
                                        ; implicit-def: $sgpr24_sgpr25
                                        ; implicit-def: $sgpr30
                                        ; implicit-def: $sgpr4_sgpr5
                                        ; implicit-def: $sgpr6_sgpr7
                                        ; implicit-def: $sgpr8_sgpr9
                                        ; implicit-def: $sgpr10_sgpr11
                                        ; implicit-def: $sgpr14_sgpr15
                                        ; implicit-def: $sgpr16_sgpr17
                                        ; implicit-def: $sgpr18_sgpr19
                                        ; implicit-def: $sgpr20_sgpr21
                                        ; implicit-def: $sgpr22_sgpr23
	s_cbranch_scc1 .LBB80_2
; %bb.4:                                ;   in Loop: Header=BB80_3 Depth=1
	s_add_u32 s4, s2, -9
	s_mov_b32 s29, -1
	s_lshl_b64 s[6:7], 1, s4
	s_mov_b32 s28, 0
	s_and_b32 s12, s6, 0x7ffffffe
                                        ; implicit-def: $sgpr24_sgpr25
                                        ; implicit-def: $sgpr30
                                        ; implicit-def: $sgpr6_sgpr7
                                        ; implicit-def: $sgpr8_sgpr9
                                        ; implicit-def: $sgpr10_sgpr11
                                        ; implicit-def: $sgpr14_sgpr15
                                        ; implicit-def: $sgpr16_sgpr17
                                        ; implicit-def: $sgpr18_sgpr19
                                        ; implicit-def: $sgpr20_sgpr21
                                        ; implicit-def: $sgpr22_sgpr23
	s_delay_alu instid0(SALU_CYCLE_1)
	s_cmp_eq_u64 s[12:13], 0
	s_mov_b32 s12, -1
	s_cbranch_scc0 .LBB80_2
; %bb.5:                                ;   in Loop: Header=BB80_3 Depth=1
	s_add_u32 s6, s2, -8
	s_mov_b32 s31, -1
	s_lshl_b64 s[8:9], 1, s6
	s_mov_b32 s29, 0
	s_and_b32 s12, s8, 0x7ffffffe
                                        ; implicit-def: $sgpr24_sgpr25
                                        ; implicit-def: $sgpr30
                                        ; implicit-def: $sgpr8_sgpr9
                                        ; implicit-def: $sgpr10_sgpr11
                                        ; implicit-def: $sgpr14_sgpr15
                                        ; implicit-def: $sgpr16_sgpr17
                                        ; implicit-def: $sgpr18_sgpr19
                                        ; implicit-def: $sgpr20_sgpr21
                                        ; implicit-def: $sgpr22_sgpr23
	s_delay_alu instid0(SALU_CYCLE_1)
	s_cmp_eq_u64 s[12:13], 0
	s_mov_b32 s12, -1
	s_cbranch_scc0 .LBB80_2
; %bb.6:                                ;   in Loop: Header=BB80_3 Depth=1
	s_add_u32 s8, s2, -7
	s_mov_b32 s33, -1
	s_lshl_b64 s[10:11], 1, s8
	s_mov_b32 s31, 0
	s_and_b32 s12, s10, 0x7ffffffe
                                        ; implicit-def: $sgpr24_sgpr25
                                        ; implicit-def: $sgpr30
                                        ; implicit-def: $sgpr10_sgpr11
                                        ; implicit-def: $sgpr14_sgpr15
                                        ; implicit-def: $sgpr16_sgpr17
                                        ; implicit-def: $sgpr18_sgpr19
                                        ; implicit-def: $sgpr20_sgpr21
                                        ; implicit-def: $sgpr22_sgpr23
	s_delay_alu instid0(SALU_CYCLE_1)
	s_cmp_eq_u64 s[12:13], 0
	s_mov_b32 s12, -1
	s_cbranch_scc0 .LBB80_2
; %bb.7:                                ;   in Loop: Header=BB80_3 Depth=1
	s_add_u32 s10, s2, -6
	s_mov_b32 s34, -1
	s_lshl_b64 s[14:15], 1, s10
	s_mov_b32 s33, 0
	s_and_b32 s12, s14, 0x7ffffffe
                                        ; implicit-def: $sgpr24_sgpr25
                                        ; implicit-def: $sgpr30
                                        ; implicit-def: $sgpr14_sgpr15
                                        ; implicit-def: $sgpr16_sgpr17
                                        ; implicit-def: $sgpr18_sgpr19
                                        ; implicit-def: $sgpr20_sgpr21
                                        ; implicit-def: $sgpr22_sgpr23
	s_delay_alu instid0(SALU_CYCLE_1)
	s_cmp_eq_u64 s[12:13], 0
	s_mov_b32 s12, -1
	s_cbranch_scc0 .LBB80_2
; %bb.8:                                ;   in Loop: Header=BB80_3 Depth=1
	s_add_u32 s14, s2, -5
	s_mov_b32 s35, -1
	s_lshl_b64 s[16:17], 1, s14
	s_mov_b32 s34, 0
	s_and_b32 s12, s16, 0x7ffffffe
                                        ; implicit-def: $sgpr24_sgpr25
                                        ; implicit-def: $sgpr30
                                        ; implicit-def: $sgpr16_sgpr17
                                        ; implicit-def: $sgpr18_sgpr19
                                        ; implicit-def: $sgpr20_sgpr21
                                        ; implicit-def: $sgpr22_sgpr23
	s_delay_alu instid0(SALU_CYCLE_1)
	s_cmp_eq_u64 s[12:13], 0
	s_mov_b32 s12, -1
	s_cbranch_scc0 .LBB80_2
; %bb.9:                                ;   in Loop: Header=BB80_3 Depth=1
	s_add_u32 s16, s2, -4
	s_mov_b32 s37, -1
	s_lshl_b64 s[18:19], 1, s16
	s_mov_b32 s35, 0
	s_and_b32 s12, s18, 0x7ffffffe
                                        ; implicit-def: $sgpr24_sgpr25
                                        ; implicit-def: $sgpr30
                                        ; implicit-def: $sgpr18_sgpr19
                                        ; implicit-def: $sgpr20_sgpr21
                                        ; implicit-def: $sgpr22_sgpr23
	s_delay_alu instid0(SALU_CYCLE_1)
	s_cmp_eq_u64 s[12:13], 0
	s_mov_b32 s12, -1
	s_cbranch_scc0 .LBB80_2
; %bb.10:                               ;   in Loop: Header=BB80_3 Depth=1
	s_add_u32 s18, s2, -3
	s_mov_b32 s38, -1
	s_lshl_b64 s[20:21], 1, s18
	s_mov_b32 s37, 0
	s_and_b32 s12, s20, 0x7ffffffe
                                        ; implicit-def: $sgpr24_sgpr25
                                        ; implicit-def: $sgpr30
                                        ; implicit-def: $sgpr20_sgpr21
                                        ; implicit-def: $sgpr22_sgpr23
	s_delay_alu instid0(SALU_CYCLE_1)
	s_cmp_eq_u64 s[12:13], 0
	s_mov_b32 s12, -1
	s_cbranch_scc0 .LBB80_2
; %bb.11:                               ;   in Loop: Header=BB80_3 Depth=1
	s_add_u32 s20, s2, -2
	s_mov_b32 s39, -1
	s_lshl_b64 s[22:23], 1, s20
	s_mov_b32 s38, 0
	s_and_b32 s12, s22, 0x7ffffffe
                                        ; implicit-def: $sgpr24_sgpr25
                                        ; implicit-def: $sgpr30
                                        ; implicit-def: $sgpr22_sgpr23
	s_delay_alu instid0(SALU_CYCLE_1)
	s_cmp_eq_u64 s[12:13], 0
	s_mov_b32 s12, -1
	s_cbranch_scc0 .LBB80_2
; %bb.12:                               ;   in Loop: Header=BB80_3 Depth=1
	s_add_u32 s22, s2, -1
	s_mov_b32 s40, -1
	s_lshl_b64 s[24:25], 1, s22
	s_mov_b32 s39, 0
	s_and_b32 s12, s24, 0x7ffffffe
                                        ; implicit-def: $sgpr24_sgpr25
                                        ; implicit-def: $sgpr30
	s_delay_alu instid0(SALU_CYCLE_1)
	s_cmp_eq_u64 s[12:13], 0
	s_mov_b32 s12, -1
	s_cbranch_scc0 .LBB80_2
; %bb.13:                               ;   in Loop: Header=BB80_3 Depth=1
	s_mov_b32 s36, -1
	s_cmp_lg_u32 s2, 64
                                        ; implicit-def: $sgpr24_sgpr25
                                        ; implicit-def: $sgpr30
	s_cbranch_scc0 .LBB80_1
; %bb.14:                               ;   in Loop: Header=BB80_3 Depth=1
	s_lshl_b64 s[24:25], 1, s2
	s_add_i32 s30, s27, 10
	s_and_b32 s12, s24, 0x7ffffffe
	s_mov_b32 s36, 0
	s_cmp_lg_u64 s[12:13], 0
	s_cselect_b32 s12, -1, 0
	s_add_u32 s24, s2, 11
	s_addc_u32 s25, s3, 0
	s_add_i32 s27, s27, 11
	s_branch .LBB80_1
.LBB80_15:
	s_and_b32 vcc_lo, exec_lo, s28
	s_mov_b32 s3, -1
	s_cbranch_vccnz .LBB80_61
; %bb.16:
	s_xor_b32 s3, s29, -1
	s_delay_alu instid0(SALU_CYCLE_1)
	s_and_not1_b32 vcc_lo, exec_lo, s3
	s_cbranch_vccnz .LBB80_28
; %bb.17:
	s_xor_b32 s3, s31, -1
	s_delay_alu instid0(SALU_CYCLE_1)
	s_and_not1_b32 vcc_lo, exec_lo, s3
	;; [unrolled: 5-line block ×9, first 2 shown]
	s_cbranch_vccnz .LBB80_36
; %bb.25:
	s_and_b32 vcc_lo, exec_lo, s36
	s_cbranch_vccz .LBB80_27
; %bb.26:
	s_mov_b32 s30, s22
.LBB80_27:
	s_mov_b32 s3, 0
	s_branch .LBB80_37
.LBB80_28:
                                        ; implicit-def: $sgpr30
	s_branch .LBB80_59
.LBB80_29:
                                        ; implicit-def: $sgpr30
	s_branch .LBB80_57
.LBB80_30:
                                        ; implicit-def: $sgpr30
	s_branch .LBB80_55
.LBB80_31:
	s_mov_b32 s3, -1
                                        ; implicit-def: $sgpr30
	s_branch .LBB80_52
.LBB80_32:
	s_mov_b32 s3, -1
                                        ; implicit-def: $sgpr30
	s_branch .LBB80_49
.LBB80_33:
	s_mov_b32 s3, -1
                                        ; implicit-def: $sgpr30
	s_branch .LBB80_46
.LBB80_34:
	s_mov_b32 s3, -1
                                        ; implicit-def: $sgpr30
	s_branch .LBB80_43
.LBB80_35:
	s_mov_b32 s3, -1
                                        ; implicit-def: $sgpr30
	s_branch .LBB80_40
.LBB80_36:
	s_mov_b32 s3, -1
                                        ; implicit-def: $sgpr30
.LBB80_37:
	s_delay_alu instid0(SALU_CYCLE_1)
	s_and_not1_b32 vcc_lo, exec_lo, s3
	s_cbranch_vccnz .LBB80_39
; %bb.38:
	s_mov_b32 s30, s20
.LBB80_39:
	s_mov_b32 s3, 0
.LBB80_40:
	s_delay_alu instid0(SALU_CYCLE_1)
	s_and_not1_b32 vcc_lo, exec_lo, s3
	s_cbranch_vccnz .LBB80_42
; %bb.41:
	s_mov_b32 s30, s18
.LBB80_42:
	s_mov_b32 s3, 0
.LBB80_43:
	s_delay_alu instid0(SALU_CYCLE_1)
	s_and_not1_b32 vcc_lo, exec_lo, s3
	s_cbranch_vccnz .LBB80_45
; %bb.44:
	s_mov_b32 s30, s16
.LBB80_45:
	s_mov_b32 s3, 0
.LBB80_46:
	s_delay_alu instid0(SALU_CYCLE_1)
	s_and_not1_b32 vcc_lo, exec_lo, s3
	s_cbranch_vccnz .LBB80_48
; %bb.47:
	s_mov_b32 s30, s14
.LBB80_48:
	s_mov_b32 s3, 0
.LBB80_49:
	s_delay_alu instid0(SALU_CYCLE_1)
	s_and_not1_b32 vcc_lo, exec_lo, s3
	s_cbranch_vccnz .LBB80_51
; %bb.50:
	s_mov_b32 s30, s10
.LBB80_51:
	s_mov_b32 s3, 0
.LBB80_52:
	s_delay_alu instid0(SALU_CYCLE_1)
	s_and_not1_b32 vcc_lo, exec_lo, s3
	s_cbranch_vccnz .LBB80_54
; %bb.53:
	s_mov_b32 s30, s8
.LBB80_54:
	s_cbranch_execnz .LBB80_56
.LBB80_55:
	s_mov_b32 s30, s6
.LBB80_56:
	s_cbranch_execnz .LBB80_58
.LBB80_57:
	s_mov_b32 s30, s4
.LBB80_58:
	s_cbranch_execnz .LBB80_60
.LBB80_59:
	s_mov_b32 s30, s26
.LBB80_60:
	s_mov_b32 s3, 0
.LBB80_61:
	s_delay_alu instid0(SALU_CYCLE_1)
	s_and_not1_b32 vcc_lo, exec_lo, s3
	s_cbranch_vccnz .LBB80_63
; %bb.62:
	s_add_i32 s30, s2, -11
.LBB80_63:
	s_load_b64 s[0:1], s[0:1], 0x0
	s_cmp_gt_u32 s30, 62
	s_cselect_b32 s2, -1, 0
	s_delay_alu instid0(SALU_CYCLE_1)
	v_cndmask_b32_e64 v1, 0, 1, s2
	s_waitcnt lgkmcnt(0)
	global_store_b8 v0, v1, s[0:1]
	s_nop 0
	s_sendmsg sendmsg(MSG_DEALLOC_VGPRS)
	s_endpgm
	.section	.rodata,"a",@progbits
	.p2align	6, 0x0
	.amdhsa_kernel _Z21device_test_warp_maskILj31EEvP10TestStatus
		.amdhsa_group_segment_fixed_size 0
		.amdhsa_private_segment_fixed_size 0
		.amdhsa_kernarg_size 8
		.amdhsa_user_sgpr_count 15
		.amdhsa_user_sgpr_dispatch_ptr 0
		.amdhsa_user_sgpr_queue_ptr 0
		.amdhsa_user_sgpr_kernarg_segment_ptr 1
		.amdhsa_user_sgpr_dispatch_id 0
		.amdhsa_user_sgpr_private_segment_size 0
		.amdhsa_wavefront_size32 1
		.amdhsa_uses_dynamic_stack 0
		.amdhsa_enable_private_segment 0
		.amdhsa_system_sgpr_workgroup_id_x 1
		.amdhsa_system_sgpr_workgroup_id_y 0
		.amdhsa_system_sgpr_workgroup_id_z 0
		.amdhsa_system_sgpr_workgroup_info 0
		.amdhsa_system_vgpr_workitem_id 0
		.amdhsa_next_free_vgpr 2
		.amdhsa_next_free_sgpr 41
		.amdhsa_reserve_vcc 1
		.amdhsa_float_round_mode_32 0
		.amdhsa_float_round_mode_16_64 0
		.amdhsa_float_denorm_mode_32 3
		.amdhsa_float_denorm_mode_16_64 3
		.amdhsa_dx10_clamp 1
		.amdhsa_ieee_mode 1
		.amdhsa_fp16_overflow 0
		.amdhsa_workgroup_processor_mode 1
		.amdhsa_memory_ordered 1
		.amdhsa_forward_progress 0
		.amdhsa_shared_vgpr_count 0
		.amdhsa_exception_fp_ieee_invalid_op 0
		.amdhsa_exception_fp_denorm_src 0
		.amdhsa_exception_fp_ieee_div_zero 0
		.amdhsa_exception_fp_ieee_overflow 0
		.amdhsa_exception_fp_ieee_underflow 0
		.amdhsa_exception_fp_ieee_inexact 0
		.amdhsa_exception_int_div_zero 0
	.end_amdhsa_kernel
	.section	.text._Z21device_test_warp_maskILj31EEvP10TestStatus,"axG",@progbits,_Z21device_test_warp_maskILj31EEvP10TestStatus,comdat
.Lfunc_end80:
	.size	_Z21device_test_warp_maskILj31EEvP10TestStatus, .Lfunc_end80-_Z21device_test_warp_maskILj31EEvP10TestStatus
                                        ; -- End function
	.section	.AMDGPU.csdata,"",@progbits
; Kernel info:
; codeLenInByte = 964
; NumSgprs: 43
; NumVgprs: 2
; ScratchSize: 0
; MemoryBound: 0
; FloatMode: 240
; IeeeMode: 1
; LDSByteSize: 0 bytes/workgroup (compile time only)
; SGPRBlocks: 5
; VGPRBlocks: 0
; NumSGPRsForWavesPerEU: 43
; NumVGPRsForWavesPerEU: 2
; Occupancy: 16
; WaveLimiterHint : 0
; COMPUTE_PGM_RSRC2:SCRATCH_EN: 0
; COMPUTE_PGM_RSRC2:USER_SGPR: 15
; COMPUTE_PGM_RSRC2:TRAP_HANDLER: 0
; COMPUTE_PGM_RSRC2:TGID_X_EN: 1
; COMPUTE_PGM_RSRC2:TGID_Y_EN: 0
; COMPUTE_PGM_RSRC2:TGID_Z_EN: 0
; COMPUTE_PGM_RSRC2:TIDIG_COMP_CNT: 0
	.section	.text._Z21device_test_warp_maskILj32EEvP10TestStatus,"axG",@progbits,_Z21device_test_warp_maskILj32EEvP10TestStatus,comdat
	.protected	_Z21device_test_warp_maskILj32EEvP10TestStatus ; -- Begin function _Z21device_test_warp_maskILj32EEvP10TestStatus
	.globl	_Z21device_test_warp_maskILj32EEvP10TestStatus
	.p2align	8
	.type	_Z21device_test_warp_maskILj32EEvP10TestStatus,@function
_Z21device_test_warp_maskILj32EEvP10TestStatus: ; @_Z21device_test_warp_maskILj32EEvP10TestStatus
; %bb.0:
	s_load_b64 s[0:1], s[0:1], 0x0
	v_mbcnt_lo_u32_b32 v1, -1, 0
	s_delay_alu instid0(VALU_DEP_1)
	v_cmp_gt_u32_e32 vcc_lo, 32, v1
	v_cndmask_b32_e64 v1, 0, 1, vcc_lo
	s_waitcnt lgkmcnt(0)
	global_store_b8 v0, v1, s[0:1]
	s_nop 0
	s_sendmsg sendmsg(MSG_DEALLOC_VGPRS)
	s_endpgm
	.section	.rodata,"a",@progbits
	.p2align	6, 0x0
	.amdhsa_kernel _Z21device_test_warp_maskILj32EEvP10TestStatus
		.amdhsa_group_segment_fixed_size 0
		.amdhsa_private_segment_fixed_size 0
		.amdhsa_kernarg_size 8
		.amdhsa_user_sgpr_count 15
		.amdhsa_user_sgpr_dispatch_ptr 0
		.amdhsa_user_sgpr_queue_ptr 0
		.amdhsa_user_sgpr_kernarg_segment_ptr 1
		.amdhsa_user_sgpr_dispatch_id 0
		.amdhsa_user_sgpr_private_segment_size 0
		.amdhsa_wavefront_size32 1
		.amdhsa_uses_dynamic_stack 0
		.amdhsa_enable_private_segment 0
		.amdhsa_system_sgpr_workgroup_id_x 1
		.amdhsa_system_sgpr_workgroup_id_y 0
		.amdhsa_system_sgpr_workgroup_id_z 0
		.amdhsa_system_sgpr_workgroup_info 0
		.amdhsa_system_vgpr_workitem_id 0
		.amdhsa_next_free_vgpr 2
		.amdhsa_next_free_sgpr 2
		.amdhsa_reserve_vcc 1
		.amdhsa_float_round_mode_32 0
		.amdhsa_float_round_mode_16_64 0
		.amdhsa_float_denorm_mode_32 3
		.amdhsa_float_denorm_mode_16_64 3
		.amdhsa_dx10_clamp 1
		.amdhsa_ieee_mode 1
		.amdhsa_fp16_overflow 0
		.amdhsa_workgroup_processor_mode 1
		.amdhsa_memory_ordered 1
		.amdhsa_forward_progress 0
		.amdhsa_shared_vgpr_count 0
		.amdhsa_exception_fp_ieee_invalid_op 0
		.amdhsa_exception_fp_denorm_src 0
		.amdhsa_exception_fp_ieee_div_zero 0
		.amdhsa_exception_fp_ieee_overflow 0
		.amdhsa_exception_fp_ieee_underflow 0
		.amdhsa_exception_fp_ieee_inexact 0
		.amdhsa_exception_int_div_zero 0
	.end_amdhsa_kernel
	.section	.text._Z21device_test_warp_maskILj32EEvP10TestStatus,"axG",@progbits,_Z21device_test_warp_maskILj32EEvP10TestStatus,comdat
.Lfunc_end81:
	.size	_Z21device_test_warp_maskILj32EEvP10TestStatus, .Lfunc_end81-_Z21device_test_warp_maskILj32EEvP10TestStatus
                                        ; -- End function
	.section	.AMDGPU.csdata,"",@progbits
; Kernel info:
; codeLenInByte = 56
; NumSgprs: 4
; NumVgprs: 2
; ScratchSize: 0
; MemoryBound: 0
; FloatMode: 240
; IeeeMode: 1
; LDSByteSize: 0 bytes/workgroup (compile time only)
; SGPRBlocks: 0
; VGPRBlocks: 0
; NumSGPRsForWavesPerEU: 4
; NumVGPRsForWavesPerEU: 2
; Occupancy: 16
; WaveLimiterHint : 0
; COMPUTE_PGM_RSRC2:SCRATCH_EN: 0
; COMPUTE_PGM_RSRC2:USER_SGPR: 15
; COMPUTE_PGM_RSRC2:TRAP_HANDLER: 0
; COMPUTE_PGM_RSRC2:TGID_X_EN: 1
; COMPUTE_PGM_RSRC2:TGID_Y_EN: 0
; COMPUTE_PGM_RSRC2:TGID_Z_EN: 0
; COMPUTE_PGM_RSRC2:TIDIG_COMP_CNT: 0
	.section	.text._Z21device_test_warp_maskILj33EEvP10TestStatus,"axG",@progbits,_Z21device_test_warp_maskILj33EEvP10TestStatus,comdat
	.protected	_Z21device_test_warp_maskILj33EEvP10TestStatus ; -- Begin function _Z21device_test_warp_maskILj33EEvP10TestStatus
	.globl	_Z21device_test_warp_maskILj33EEvP10TestStatus
	.p2align	8
	.type	_Z21device_test_warp_maskILj33EEvP10TestStatus,@function
_Z21device_test_warp_maskILj33EEvP10TestStatus: ; @_Z21device_test_warp_maskILj33EEvP10TestStatus
; %bb.0:
	s_load_b64 s[0:1], s[0:1], 0x0
	v_mov_b32_e32 v1, 1
	s_waitcnt lgkmcnt(0)
	global_store_b8 v0, v1, s[0:1]
	s_nop 0
	s_sendmsg sendmsg(MSG_DEALLOC_VGPRS)
	s_endpgm
	.section	.rodata,"a",@progbits
	.p2align	6, 0x0
	.amdhsa_kernel _Z21device_test_warp_maskILj33EEvP10TestStatus
		.amdhsa_group_segment_fixed_size 0
		.amdhsa_private_segment_fixed_size 0
		.amdhsa_kernarg_size 8
		.amdhsa_user_sgpr_count 15
		.amdhsa_user_sgpr_dispatch_ptr 0
		.amdhsa_user_sgpr_queue_ptr 0
		.amdhsa_user_sgpr_kernarg_segment_ptr 1
		.amdhsa_user_sgpr_dispatch_id 0
		.amdhsa_user_sgpr_private_segment_size 0
		.amdhsa_wavefront_size32 1
		.amdhsa_uses_dynamic_stack 0
		.amdhsa_enable_private_segment 0
		.amdhsa_system_sgpr_workgroup_id_x 1
		.amdhsa_system_sgpr_workgroup_id_y 0
		.amdhsa_system_sgpr_workgroup_id_z 0
		.amdhsa_system_sgpr_workgroup_info 0
		.amdhsa_system_vgpr_workitem_id 0
		.amdhsa_next_free_vgpr 2
		.amdhsa_next_free_sgpr 2
		.amdhsa_reserve_vcc 0
		.amdhsa_float_round_mode_32 0
		.amdhsa_float_round_mode_16_64 0
		.amdhsa_float_denorm_mode_32 3
		.amdhsa_float_denorm_mode_16_64 3
		.amdhsa_dx10_clamp 1
		.amdhsa_ieee_mode 1
		.amdhsa_fp16_overflow 0
		.amdhsa_workgroup_processor_mode 1
		.amdhsa_memory_ordered 1
		.amdhsa_forward_progress 0
		.amdhsa_shared_vgpr_count 0
		.amdhsa_exception_fp_ieee_invalid_op 0
		.amdhsa_exception_fp_denorm_src 0
		.amdhsa_exception_fp_ieee_div_zero 0
		.amdhsa_exception_fp_ieee_overflow 0
		.amdhsa_exception_fp_ieee_underflow 0
		.amdhsa_exception_fp_ieee_inexact 0
		.amdhsa_exception_int_div_zero 0
	.end_amdhsa_kernel
	.section	.text._Z21device_test_warp_maskILj33EEvP10TestStatus,"axG",@progbits,_Z21device_test_warp_maskILj33EEvP10TestStatus,comdat
.Lfunc_end82:
	.size	_Z21device_test_warp_maskILj33EEvP10TestStatus, .Lfunc_end82-_Z21device_test_warp_maskILj33EEvP10TestStatus
                                        ; -- End function
	.section	.AMDGPU.csdata,"",@progbits
; Kernel info:
; codeLenInByte = 36
; NumSgprs: 2
; NumVgprs: 2
; ScratchSize: 0
; MemoryBound: 0
; FloatMode: 240
; IeeeMode: 1
; LDSByteSize: 0 bytes/workgroup (compile time only)
; SGPRBlocks: 0
; VGPRBlocks: 0
; NumSGPRsForWavesPerEU: 2
; NumVGPRsForWavesPerEU: 2
; Occupancy: 16
; WaveLimiterHint : 0
; COMPUTE_PGM_RSRC2:SCRATCH_EN: 0
; COMPUTE_PGM_RSRC2:USER_SGPR: 15
; COMPUTE_PGM_RSRC2:TRAP_HANDLER: 0
; COMPUTE_PGM_RSRC2:TGID_X_EN: 1
; COMPUTE_PGM_RSRC2:TGID_Y_EN: 0
; COMPUTE_PGM_RSRC2:TGID_Z_EN: 0
; COMPUTE_PGM_RSRC2:TIDIG_COMP_CNT: 0
	.section	.text._Z21device_test_warp_maskILj34EEvP10TestStatus,"axG",@progbits,_Z21device_test_warp_maskILj34EEvP10TestStatus,comdat
	.protected	_Z21device_test_warp_maskILj34EEvP10TestStatus ; -- Begin function _Z21device_test_warp_maskILj34EEvP10TestStatus
	.globl	_Z21device_test_warp_maskILj34EEvP10TestStatus
	.p2align	8
	.type	_Z21device_test_warp_maskILj34EEvP10TestStatus,@function
_Z21device_test_warp_maskILj34EEvP10TestStatus: ; @_Z21device_test_warp_maskILj34EEvP10TestStatus
; %bb.0:
	s_load_b64 s[0:1], s[0:1], 0x0
	v_mov_b32_e32 v1, 1
	s_waitcnt lgkmcnt(0)
	global_store_b8 v0, v1, s[0:1]
	s_nop 0
	s_sendmsg sendmsg(MSG_DEALLOC_VGPRS)
	s_endpgm
	.section	.rodata,"a",@progbits
	.p2align	6, 0x0
	.amdhsa_kernel _Z21device_test_warp_maskILj34EEvP10TestStatus
		.amdhsa_group_segment_fixed_size 0
		.amdhsa_private_segment_fixed_size 0
		.amdhsa_kernarg_size 8
		.amdhsa_user_sgpr_count 15
		.amdhsa_user_sgpr_dispatch_ptr 0
		.amdhsa_user_sgpr_queue_ptr 0
		.amdhsa_user_sgpr_kernarg_segment_ptr 1
		.amdhsa_user_sgpr_dispatch_id 0
		.amdhsa_user_sgpr_private_segment_size 0
		.amdhsa_wavefront_size32 1
		.amdhsa_uses_dynamic_stack 0
		.amdhsa_enable_private_segment 0
		.amdhsa_system_sgpr_workgroup_id_x 1
		.amdhsa_system_sgpr_workgroup_id_y 0
		.amdhsa_system_sgpr_workgroup_id_z 0
		.amdhsa_system_sgpr_workgroup_info 0
		.amdhsa_system_vgpr_workitem_id 0
		.amdhsa_next_free_vgpr 2
		.amdhsa_next_free_sgpr 2
		.amdhsa_reserve_vcc 0
		.amdhsa_float_round_mode_32 0
		.amdhsa_float_round_mode_16_64 0
		.amdhsa_float_denorm_mode_32 3
		.amdhsa_float_denorm_mode_16_64 3
		.amdhsa_dx10_clamp 1
		.amdhsa_ieee_mode 1
		.amdhsa_fp16_overflow 0
		.amdhsa_workgroup_processor_mode 1
		.amdhsa_memory_ordered 1
		.amdhsa_forward_progress 0
		.amdhsa_shared_vgpr_count 0
		.amdhsa_exception_fp_ieee_invalid_op 0
		.amdhsa_exception_fp_denorm_src 0
		.amdhsa_exception_fp_ieee_div_zero 0
		.amdhsa_exception_fp_ieee_overflow 0
		.amdhsa_exception_fp_ieee_underflow 0
		.amdhsa_exception_fp_ieee_inexact 0
		.amdhsa_exception_int_div_zero 0
	.end_amdhsa_kernel
	.section	.text._Z21device_test_warp_maskILj34EEvP10TestStatus,"axG",@progbits,_Z21device_test_warp_maskILj34EEvP10TestStatus,comdat
.Lfunc_end83:
	.size	_Z21device_test_warp_maskILj34EEvP10TestStatus, .Lfunc_end83-_Z21device_test_warp_maskILj34EEvP10TestStatus
                                        ; -- End function
	.section	.AMDGPU.csdata,"",@progbits
; Kernel info:
; codeLenInByte = 36
; NumSgprs: 2
; NumVgprs: 2
; ScratchSize: 0
; MemoryBound: 0
; FloatMode: 240
; IeeeMode: 1
; LDSByteSize: 0 bytes/workgroup (compile time only)
; SGPRBlocks: 0
; VGPRBlocks: 0
; NumSGPRsForWavesPerEU: 2
; NumVGPRsForWavesPerEU: 2
; Occupancy: 16
; WaveLimiterHint : 0
; COMPUTE_PGM_RSRC2:SCRATCH_EN: 0
; COMPUTE_PGM_RSRC2:USER_SGPR: 15
; COMPUTE_PGM_RSRC2:TRAP_HANDLER: 0
; COMPUTE_PGM_RSRC2:TGID_X_EN: 1
; COMPUTE_PGM_RSRC2:TGID_Y_EN: 0
; COMPUTE_PGM_RSRC2:TGID_Z_EN: 0
; COMPUTE_PGM_RSRC2:TIDIG_COMP_CNT: 0
	.section	.text._Z21device_test_warp_maskILj35EEvP10TestStatus,"axG",@progbits,_Z21device_test_warp_maskILj35EEvP10TestStatus,comdat
	.protected	_Z21device_test_warp_maskILj35EEvP10TestStatus ; -- Begin function _Z21device_test_warp_maskILj35EEvP10TestStatus
	.globl	_Z21device_test_warp_maskILj35EEvP10TestStatus
	.p2align	8
	.type	_Z21device_test_warp_maskILj35EEvP10TestStatus,@function
_Z21device_test_warp_maskILj35EEvP10TestStatus: ; @_Z21device_test_warp_maskILj35EEvP10TestStatus
; %bb.0:
	s_load_b64 s[0:1], s[0:1], 0x0
	v_mov_b32_e32 v1, 1
	s_waitcnt lgkmcnt(0)
	global_store_b8 v0, v1, s[0:1]
	s_nop 0
	s_sendmsg sendmsg(MSG_DEALLOC_VGPRS)
	s_endpgm
	.section	.rodata,"a",@progbits
	.p2align	6, 0x0
	.amdhsa_kernel _Z21device_test_warp_maskILj35EEvP10TestStatus
		.amdhsa_group_segment_fixed_size 0
		.amdhsa_private_segment_fixed_size 0
		.amdhsa_kernarg_size 8
		.amdhsa_user_sgpr_count 15
		.amdhsa_user_sgpr_dispatch_ptr 0
		.amdhsa_user_sgpr_queue_ptr 0
		.amdhsa_user_sgpr_kernarg_segment_ptr 1
		.amdhsa_user_sgpr_dispatch_id 0
		.amdhsa_user_sgpr_private_segment_size 0
		.amdhsa_wavefront_size32 1
		.amdhsa_uses_dynamic_stack 0
		.amdhsa_enable_private_segment 0
		.amdhsa_system_sgpr_workgroup_id_x 1
		.amdhsa_system_sgpr_workgroup_id_y 0
		.amdhsa_system_sgpr_workgroup_id_z 0
		.amdhsa_system_sgpr_workgroup_info 0
		.amdhsa_system_vgpr_workitem_id 0
		.amdhsa_next_free_vgpr 2
		.amdhsa_next_free_sgpr 2
		.amdhsa_reserve_vcc 0
		.amdhsa_float_round_mode_32 0
		.amdhsa_float_round_mode_16_64 0
		.amdhsa_float_denorm_mode_32 3
		.amdhsa_float_denorm_mode_16_64 3
		.amdhsa_dx10_clamp 1
		.amdhsa_ieee_mode 1
		.amdhsa_fp16_overflow 0
		.amdhsa_workgroup_processor_mode 1
		.amdhsa_memory_ordered 1
		.amdhsa_forward_progress 0
		.amdhsa_shared_vgpr_count 0
		.amdhsa_exception_fp_ieee_invalid_op 0
		.amdhsa_exception_fp_denorm_src 0
		.amdhsa_exception_fp_ieee_div_zero 0
		.amdhsa_exception_fp_ieee_overflow 0
		.amdhsa_exception_fp_ieee_underflow 0
		.amdhsa_exception_fp_ieee_inexact 0
		.amdhsa_exception_int_div_zero 0
	.end_amdhsa_kernel
	.section	.text._Z21device_test_warp_maskILj35EEvP10TestStatus,"axG",@progbits,_Z21device_test_warp_maskILj35EEvP10TestStatus,comdat
.Lfunc_end84:
	.size	_Z21device_test_warp_maskILj35EEvP10TestStatus, .Lfunc_end84-_Z21device_test_warp_maskILj35EEvP10TestStatus
                                        ; -- End function
	.section	.AMDGPU.csdata,"",@progbits
; Kernel info:
; codeLenInByte = 36
; NumSgprs: 2
; NumVgprs: 2
; ScratchSize: 0
; MemoryBound: 0
; FloatMode: 240
; IeeeMode: 1
; LDSByteSize: 0 bytes/workgroup (compile time only)
; SGPRBlocks: 0
; VGPRBlocks: 0
; NumSGPRsForWavesPerEU: 2
; NumVGPRsForWavesPerEU: 2
; Occupancy: 16
; WaveLimiterHint : 0
; COMPUTE_PGM_RSRC2:SCRATCH_EN: 0
; COMPUTE_PGM_RSRC2:USER_SGPR: 15
; COMPUTE_PGM_RSRC2:TRAP_HANDLER: 0
; COMPUTE_PGM_RSRC2:TGID_X_EN: 1
; COMPUTE_PGM_RSRC2:TGID_Y_EN: 0
; COMPUTE_PGM_RSRC2:TGID_Z_EN: 0
; COMPUTE_PGM_RSRC2:TIDIG_COMP_CNT: 0
	.section	.text._Z21device_test_warp_maskILj36EEvP10TestStatus,"axG",@progbits,_Z21device_test_warp_maskILj36EEvP10TestStatus,comdat
	.protected	_Z21device_test_warp_maskILj36EEvP10TestStatus ; -- Begin function _Z21device_test_warp_maskILj36EEvP10TestStatus
	.globl	_Z21device_test_warp_maskILj36EEvP10TestStatus
	.p2align	8
	.type	_Z21device_test_warp_maskILj36EEvP10TestStatus,@function
_Z21device_test_warp_maskILj36EEvP10TestStatus: ; @_Z21device_test_warp_maskILj36EEvP10TestStatus
; %bb.0:
	s_load_b64 s[0:1], s[0:1], 0x0
	v_mov_b32_e32 v1, 1
	s_waitcnt lgkmcnt(0)
	global_store_b8 v0, v1, s[0:1]
	s_nop 0
	s_sendmsg sendmsg(MSG_DEALLOC_VGPRS)
	s_endpgm
	.section	.rodata,"a",@progbits
	.p2align	6, 0x0
	.amdhsa_kernel _Z21device_test_warp_maskILj36EEvP10TestStatus
		.amdhsa_group_segment_fixed_size 0
		.amdhsa_private_segment_fixed_size 0
		.amdhsa_kernarg_size 8
		.amdhsa_user_sgpr_count 15
		.amdhsa_user_sgpr_dispatch_ptr 0
		.amdhsa_user_sgpr_queue_ptr 0
		.amdhsa_user_sgpr_kernarg_segment_ptr 1
		.amdhsa_user_sgpr_dispatch_id 0
		.amdhsa_user_sgpr_private_segment_size 0
		.amdhsa_wavefront_size32 1
		.amdhsa_uses_dynamic_stack 0
		.amdhsa_enable_private_segment 0
		.amdhsa_system_sgpr_workgroup_id_x 1
		.amdhsa_system_sgpr_workgroup_id_y 0
		.amdhsa_system_sgpr_workgroup_id_z 0
		.amdhsa_system_sgpr_workgroup_info 0
		.amdhsa_system_vgpr_workitem_id 0
		.amdhsa_next_free_vgpr 2
		.amdhsa_next_free_sgpr 2
		.amdhsa_reserve_vcc 0
		.amdhsa_float_round_mode_32 0
		.amdhsa_float_round_mode_16_64 0
		.amdhsa_float_denorm_mode_32 3
		.amdhsa_float_denorm_mode_16_64 3
		.amdhsa_dx10_clamp 1
		.amdhsa_ieee_mode 1
		.amdhsa_fp16_overflow 0
		.amdhsa_workgroup_processor_mode 1
		.amdhsa_memory_ordered 1
		.amdhsa_forward_progress 0
		.amdhsa_shared_vgpr_count 0
		.amdhsa_exception_fp_ieee_invalid_op 0
		.amdhsa_exception_fp_denorm_src 0
		.amdhsa_exception_fp_ieee_div_zero 0
		.amdhsa_exception_fp_ieee_overflow 0
		.amdhsa_exception_fp_ieee_underflow 0
		.amdhsa_exception_fp_ieee_inexact 0
		.amdhsa_exception_int_div_zero 0
	.end_amdhsa_kernel
	.section	.text._Z21device_test_warp_maskILj36EEvP10TestStatus,"axG",@progbits,_Z21device_test_warp_maskILj36EEvP10TestStatus,comdat
.Lfunc_end85:
	.size	_Z21device_test_warp_maskILj36EEvP10TestStatus, .Lfunc_end85-_Z21device_test_warp_maskILj36EEvP10TestStatus
                                        ; -- End function
	.section	.AMDGPU.csdata,"",@progbits
; Kernel info:
; codeLenInByte = 36
; NumSgprs: 2
; NumVgprs: 2
; ScratchSize: 0
; MemoryBound: 0
; FloatMode: 240
; IeeeMode: 1
; LDSByteSize: 0 bytes/workgroup (compile time only)
; SGPRBlocks: 0
; VGPRBlocks: 0
; NumSGPRsForWavesPerEU: 2
; NumVGPRsForWavesPerEU: 2
; Occupancy: 16
; WaveLimiterHint : 0
; COMPUTE_PGM_RSRC2:SCRATCH_EN: 0
; COMPUTE_PGM_RSRC2:USER_SGPR: 15
; COMPUTE_PGM_RSRC2:TRAP_HANDLER: 0
; COMPUTE_PGM_RSRC2:TGID_X_EN: 1
; COMPUTE_PGM_RSRC2:TGID_Y_EN: 0
; COMPUTE_PGM_RSRC2:TGID_Z_EN: 0
; COMPUTE_PGM_RSRC2:TIDIG_COMP_CNT: 0
	.section	.text._Z21device_test_warp_maskILj37EEvP10TestStatus,"axG",@progbits,_Z21device_test_warp_maskILj37EEvP10TestStatus,comdat
	.protected	_Z21device_test_warp_maskILj37EEvP10TestStatus ; -- Begin function _Z21device_test_warp_maskILj37EEvP10TestStatus
	.globl	_Z21device_test_warp_maskILj37EEvP10TestStatus
	.p2align	8
	.type	_Z21device_test_warp_maskILj37EEvP10TestStatus,@function
_Z21device_test_warp_maskILj37EEvP10TestStatus: ; @_Z21device_test_warp_maskILj37EEvP10TestStatus
; %bb.0:
	s_load_b64 s[0:1], s[0:1], 0x0
	v_mov_b32_e32 v1, 1
	s_waitcnt lgkmcnt(0)
	global_store_b8 v0, v1, s[0:1]
	s_nop 0
	s_sendmsg sendmsg(MSG_DEALLOC_VGPRS)
	s_endpgm
	.section	.rodata,"a",@progbits
	.p2align	6, 0x0
	.amdhsa_kernel _Z21device_test_warp_maskILj37EEvP10TestStatus
		.amdhsa_group_segment_fixed_size 0
		.amdhsa_private_segment_fixed_size 0
		.amdhsa_kernarg_size 8
		.amdhsa_user_sgpr_count 15
		.amdhsa_user_sgpr_dispatch_ptr 0
		.amdhsa_user_sgpr_queue_ptr 0
		.amdhsa_user_sgpr_kernarg_segment_ptr 1
		.amdhsa_user_sgpr_dispatch_id 0
		.amdhsa_user_sgpr_private_segment_size 0
		.amdhsa_wavefront_size32 1
		.amdhsa_uses_dynamic_stack 0
		.amdhsa_enable_private_segment 0
		.amdhsa_system_sgpr_workgroup_id_x 1
		.amdhsa_system_sgpr_workgroup_id_y 0
		.amdhsa_system_sgpr_workgroup_id_z 0
		.amdhsa_system_sgpr_workgroup_info 0
		.amdhsa_system_vgpr_workitem_id 0
		.amdhsa_next_free_vgpr 2
		.amdhsa_next_free_sgpr 2
		.amdhsa_reserve_vcc 0
		.amdhsa_float_round_mode_32 0
		.amdhsa_float_round_mode_16_64 0
		.amdhsa_float_denorm_mode_32 3
		.amdhsa_float_denorm_mode_16_64 3
		.amdhsa_dx10_clamp 1
		.amdhsa_ieee_mode 1
		.amdhsa_fp16_overflow 0
		.amdhsa_workgroup_processor_mode 1
		.amdhsa_memory_ordered 1
		.amdhsa_forward_progress 0
		.amdhsa_shared_vgpr_count 0
		.amdhsa_exception_fp_ieee_invalid_op 0
		.amdhsa_exception_fp_denorm_src 0
		.amdhsa_exception_fp_ieee_div_zero 0
		.amdhsa_exception_fp_ieee_overflow 0
		.amdhsa_exception_fp_ieee_underflow 0
		.amdhsa_exception_fp_ieee_inexact 0
		.amdhsa_exception_int_div_zero 0
	.end_amdhsa_kernel
	.section	.text._Z21device_test_warp_maskILj37EEvP10TestStatus,"axG",@progbits,_Z21device_test_warp_maskILj37EEvP10TestStatus,comdat
.Lfunc_end86:
	.size	_Z21device_test_warp_maskILj37EEvP10TestStatus, .Lfunc_end86-_Z21device_test_warp_maskILj37EEvP10TestStatus
                                        ; -- End function
	.section	.AMDGPU.csdata,"",@progbits
; Kernel info:
; codeLenInByte = 36
; NumSgprs: 2
; NumVgprs: 2
; ScratchSize: 0
; MemoryBound: 0
; FloatMode: 240
; IeeeMode: 1
; LDSByteSize: 0 bytes/workgroup (compile time only)
; SGPRBlocks: 0
; VGPRBlocks: 0
; NumSGPRsForWavesPerEU: 2
; NumVGPRsForWavesPerEU: 2
; Occupancy: 16
; WaveLimiterHint : 0
; COMPUTE_PGM_RSRC2:SCRATCH_EN: 0
; COMPUTE_PGM_RSRC2:USER_SGPR: 15
; COMPUTE_PGM_RSRC2:TRAP_HANDLER: 0
; COMPUTE_PGM_RSRC2:TGID_X_EN: 1
; COMPUTE_PGM_RSRC2:TGID_Y_EN: 0
; COMPUTE_PGM_RSRC2:TGID_Z_EN: 0
; COMPUTE_PGM_RSRC2:TIDIG_COMP_CNT: 0
	.section	.text._Z21device_test_warp_maskILj38EEvP10TestStatus,"axG",@progbits,_Z21device_test_warp_maskILj38EEvP10TestStatus,comdat
	.protected	_Z21device_test_warp_maskILj38EEvP10TestStatus ; -- Begin function _Z21device_test_warp_maskILj38EEvP10TestStatus
	.globl	_Z21device_test_warp_maskILj38EEvP10TestStatus
	.p2align	8
	.type	_Z21device_test_warp_maskILj38EEvP10TestStatus,@function
_Z21device_test_warp_maskILj38EEvP10TestStatus: ; @_Z21device_test_warp_maskILj38EEvP10TestStatus
; %bb.0:
	s_load_b64 s[0:1], s[0:1], 0x0
	v_mov_b32_e32 v1, 1
	s_waitcnt lgkmcnt(0)
	global_store_b8 v0, v1, s[0:1]
	s_nop 0
	s_sendmsg sendmsg(MSG_DEALLOC_VGPRS)
	s_endpgm
	.section	.rodata,"a",@progbits
	.p2align	6, 0x0
	.amdhsa_kernel _Z21device_test_warp_maskILj38EEvP10TestStatus
		.amdhsa_group_segment_fixed_size 0
		.amdhsa_private_segment_fixed_size 0
		.amdhsa_kernarg_size 8
		.amdhsa_user_sgpr_count 15
		.amdhsa_user_sgpr_dispatch_ptr 0
		.amdhsa_user_sgpr_queue_ptr 0
		.amdhsa_user_sgpr_kernarg_segment_ptr 1
		.amdhsa_user_sgpr_dispatch_id 0
		.amdhsa_user_sgpr_private_segment_size 0
		.amdhsa_wavefront_size32 1
		.amdhsa_uses_dynamic_stack 0
		.amdhsa_enable_private_segment 0
		.amdhsa_system_sgpr_workgroup_id_x 1
		.amdhsa_system_sgpr_workgroup_id_y 0
		.amdhsa_system_sgpr_workgroup_id_z 0
		.amdhsa_system_sgpr_workgroup_info 0
		.amdhsa_system_vgpr_workitem_id 0
		.amdhsa_next_free_vgpr 2
		.amdhsa_next_free_sgpr 2
		.amdhsa_reserve_vcc 0
		.amdhsa_float_round_mode_32 0
		.amdhsa_float_round_mode_16_64 0
		.amdhsa_float_denorm_mode_32 3
		.amdhsa_float_denorm_mode_16_64 3
		.amdhsa_dx10_clamp 1
		.amdhsa_ieee_mode 1
		.amdhsa_fp16_overflow 0
		.amdhsa_workgroup_processor_mode 1
		.amdhsa_memory_ordered 1
		.amdhsa_forward_progress 0
		.amdhsa_shared_vgpr_count 0
		.amdhsa_exception_fp_ieee_invalid_op 0
		.amdhsa_exception_fp_denorm_src 0
		.amdhsa_exception_fp_ieee_div_zero 0
		.amdhsa_exception_fp_ieee_overflow 0
		.amdhsa_exception_fp_ieee_underflow 0
		.amdhsa_exception_fp_ieee_inexact 0
		.amdhsa_exception_int_div_zero 0
	.end_amdhsa_kernel
	.section	.text._Z21device_test_warp_maskILj38EEvP10TestStatus,"axG",@progbits,_Z21device_test_warp_maskILj38EEvP10TestStatus,comdat
.Lfunc_end87:
	.size	_Z21device_test_warp_maskILj38EEvP10TestStatus, .Lfunc_end87-_Z21device_test_warp_maskILj38EEvP10TestStatus
                                        ; -- End function
	.section	.AMDGPU.csdata,"",@progbits
; Kernel info:
; codeLenInByte = 36
; NumSgprs: 2
; NumVgprs: 2
; ScratchSize: 0
; MemoryBound: 0
; FloatMode: 240
; IeeeMode: 1
; LDSByteSize: 0 bytes/workgroup (compile time only)
; SGPRBlocks: 0
; VGPRBlocks: 0
; NumSGPRsForWavesPerEU: 2
; NumVGPRsForWavesPerEU: 2
; Occupancy: 16
; WaveLimiterHint : 0
; COMPUTE_PGM_RSRC2:SCRATCH_EN: 0
; COMPUTE_PGM_RSRC2:USER_SGPR: 15
; COMPUTE_PGM_RSRC2:TRAP_HANDLER: 0
; COMPUTE_PGM_RSRC2:TGID_X_EN: 1
; COMPUTE_PGM_RSRC2:TGID_Y_EN: 0
; COMPUTE_PGM_RSRC2:TGID_Z_EN: 0
; COMPUTE_PGM_RSRC2:TIDIG_COMP_CNT: 0
	.section	.text._Z21device_test_warp_maskILj39EEvP10TestStatus,"axG",@progbits,_Z21device_test_warp_maskILj39EEvP10TestStatus,comdat
	.protected	_Z21device_test_warp_maskILj39EEvP10TestStatus ; -- Begin function _Z21device_test_warp_maskILj39EEvP10TestStatus
	.globl	_Z21device_test_warp_maskILj39EEvP10TestStatus
	.p2align	8
	.type	_Z21device_test_warp_maskILj39EEvP10TestStatus,@function
_Z21device_test_warp_maskILj39EEvP10TestStatus: ; @_Z21device_test_warp_maskILj39EEvP10TestStatus
; %bb.0:
	s_load_b64 s[0:1], s[0:1], 0x0
	v_mov_b32_e32 v1, 1
	s_waitcnt lgkmcnt(0)
	global_store_b8 v0, v1, s[0:1]
	s_nop 0
	s_sendmsg sendmsg(MSG_DEALLOC_VGPRS)
	s_endpgm
	.section	.rodata,"a",@progbits
	.p2align	6, 0x0
	.amdhsa_kernel _Z21device_test_warp_maskILj39EEvP10TestStatus
		.amdhsa_group_segment_fixed_size 0
		.amdhsa_private_segment_fixed_size 0
		.amdhsa_kernarg_size 8
		.amdhsa_user_sgpr_count 15
		.amdhsa_user_sgpr_dispatch_ptr 0
		.amdhsa_user_sgpr_queue_ptr 0
		.amdhsa_user_sgpr_kernarg_segment_ptr 1
		.amdhsa_user_sgpr_dispatch_id 0
		.amdhsa_user_sgpr_private_segment_size 0
		.amdhsa_wavefront_size32 1
		.amdhsa_uses_dynamic_stack 0
		.amdhsa_enable_private_segment 0
		.amdhsa_system_sgpr_workgroup_id_x 1
		.amdhsa_system_sgpr_workgroup_id_y 0
		.amdhsa_system_sgpr_workgroup_id_z 0
		.amdhsa_system_sgpr_workgroup_info 0
		.amdhsa_system_vgpr_workitem_id 0
		.amdhsa_next_free_vgpr 2
		.amdhsa_next_free_sgpr 2
		.amdhsa_reserve_vcc 0
		.amdhsa_float_round_mode_32 0
		.amdhsa_float_round_mode_16_64 0
		.amdhsa_float_denorm_mode_32 3
		.amdhsa_float_denorm_mode_16_64 3
		.amdhsa_dx10_clamp 1
		.amdhsa_ieee_mode 1
		.amdhsa_fp16_overflow 0
		.amdhsa_workgroup_processor_mode 1
		.amdhsa_memory_ordered 1
		.amdhsa_forward_progress 0
		.amdhsa_shared_vgpr_count 0
		.amdhsa_exception_fp_ieee_invalid_op 0
		.amdhsa_exception_fp_denorm_src 0
		.amdhsa_exception_fp_ieee_div_zero 0
		.amdhsa_exception_fp_ieee_overflow 0
		.amdhsa_exception_fp_ieee_underflow 0
		.amdhsa_exception_fp_ieee_inexact 0
		.amdhsa_exception_int_div_zero 0
	.end_amdhsa_kernel
	.section	.text._Z21device_test_warp_maskILj39EEvP10TestStatus,"axG",@progbits,_Z21device_test_warp_maskILj39EEvP10TestStatus,comdat
.Lfunc_end88:
	.size	_Z21device_test_warp_maskILj39EEvP10TestStatus, .Lfunc_end88-_Z21device_test_warp_maskILj39EEvP10TestStatus
                                        ; -- End function
	.section	.AMDGPU.csdata,"",@progbits
; Kernel info:
; codeLenInByte = 36
; NumSgprs: 2
; NumVgprs: 2
; ScratchSize: 0
; MemoryBound: 0
; FloatMode: 240
; IeeeMode: 1
; LDSByteSize: 0 bytes/workgroup (compile time only)
; SGPRBlocks: 0
; VGPRBlocks: 0
; NumSGPRsForWavesPerEU: 2
; NumVGPRsForWavesPerEU: 2
; Occupancy: 16
; WaveLimiterHint : 0
; COMPUTE_PGM_RSRC2:SCRATCH_EN: 0
; COMPUTE_PGM_RSRC2:USER_SGPR: 15
; COMPUTE_PGM_RSRC2:TRAP_HANDLER: 0
; COMPUTE_PGM_RSRC2:TGID_X_EN: 1
; COMPUTE_PGM_RSRC2:TGID_Y_EN: 0
; COMPUTE_PGM_RSRC2:TGID_Z_EN: 0
; COMPUTE_PGM_RSRC2:TIDIG_COMP_CNT: 0
	.section	.text._Z21device_test_warp_maskILj40EEvP10TestStatus,"axG",@progbits,_Z21device_test_warp_maskILj40EEvP10TestStatus,comdat
	.protected	_Z21device_test_warp_maskILj40EEvP10TestStatus ; -- Begin function _Z21device_test_warp_maskILj40EEvP10TestStatus
	.globl	_Z21device_test_warp_maskILj40EEvP10TestStatus
	.p2align	8
	.type	_Z21device_test_warp_maskILj40EEvP10TestStatus,@function
_Z21device_test_warp_maskILj40EEvP10TestStatus: ; @_Z21device_test_warp_maskILj40EEvP10TestStatus
; %bb.0:
	s_load_b64 s[0:1], s[0:1], 0x0
	v_mov_b32_e32 v1, 1
	s_waitcnt lgkmcnt(0)
	global_store_b8 v0, v1, s[0:1]
	s_nop 0
	s_sendmsg sendmsg(MSG_DEALLOC_VGPRS)
	s_endpgm
	.section	.rodata,"a",@progbits
	.p2align	6, 0x0
	.amdhsa_kernel _Z21device_test_warp_maskILj40EEvP10TestStatus
		.amdhsa_group_segment_fixed_size 0
		.amdhsa_private_segment_fixed_size 0
		.amdhsa_kernarg_size 8
		.amdhsa_user_sgpr_count 15
		.amdhsa_user_sgpr_dispatch_ptr 0
		.amdhsa_user_sgpr_queue_ptr 0
		.amdhsa_user_sgpr_kernarg_segment_ptr 1
		.amdhsa_user_sgpr_dispatch_id 0
		.amdhsa_user_sgpr_private_segment_size 0
		.amdhsa_wavefront_size32 1
		.amdhsa_uses_dynamic_stack 0
		.amdhsa_enable_private_segment 0
		.amdhsa_system_sgpr_workgroup_id_x 1
		.amdhsa_system_sgpr_workgroup_id_y 0
		.amdhsa_system_sgpr_workgroup_id_z 0
		.amdhsa_system_sgpr_workgroup_info 0
		.amdhsa_system_vgpr_workitem_id 0
		.amdhsa_next_free_vgpr 2
		.amdhsa_next_free_sgpr 2
		.amdhsa_reserve_vcc 0
		.amdhsa_float_round_mode_32 0
		.amdhsa_float_round_mode_16_64 0
		.amdhsa_float_denorm_mode_32 3
		.amdhsa_float_denorm_mode_16_64 3
		.amdhsa_dx10_clamp 1
		.amdhsa_ieee_mode 1
		.amdhsa_fp16_overflow 0
		.amdhsa_workgroup_processor_mode 1
		.amdhsa_memory_ordered 1
		.amdhsa_forward_progress 0
		.amdhsa_shared_vgpr_count 0
		.amdhsa_exception_fp_ieee_invalid_op 0
		.amdhsa_exception_fp_denorm_src 0
		.amdhsa_exception_fp_ieee_div_zero 0
		.amdhsa_exception_fp_ieee_overflow 0
		.amdhsa_exception_fp_ieee_underflow 0
		.amdhsa_exception_fp_ieee_inexact 0
		.amdhsa_exception_int_div_zero 0
	.end_amdhsa_kernel
	.section	.text._Z21device_test_warp_maskILj40EEvP10TestStatus,"axG",@progbits,_Z21device_test_warp_maskILj40EEvP10TestStatus,comdat
.Lfunc_end89:
	.size	_Z21device_test_warp_maskILj40EEvP10TestStatus, .Lfunc_end89-_Z21device_test_warp_maskILj40EEvP10TestStatus
                                        ; -- End function
	.section	.AMDGPU.csdata,"",@progbits
; Kernel info:
; codeLenInByte = 36
; NumSgprs: 2
; NumVgprs: 2
; ScratchSize: 0
; MemoryBound: 0
; FloatMode: 240
; IeeeMode: 1
; LDSByteSize: 0 bytes/workgroup (compile time only)
; SGPRBlocks: 0
; VGPRBlocks: 0
; NumSGPRsForWavesPerEU: 2
; NumVGPRsForWavesPerEU: 2
; Occupancy: 16
; WaveLimiterHint : 0
; COMPUTE_PGM_RSRC2:SCRATCH_EN: 0
; COMPUTE_PGM_RSRC2:USER_SGPR: 15
; COMPUTE_PGM_RSRC2:TRAP_HANDLER: 0
; COMPUTE_PGM_RSRC2:TGID_X_EN: 1
; COMPUTE_PGM_RSRC2:TGID_Y_EN: 0
; COMPUTE_PGM_RSRC2:TGID_Z_EN: 0
; COMPUTE_PGM_RSRC2:TIDIG_COMP_CNT: 0
	.section	.text._Z21device_test_warp_maskILj41EEvP10TestStatus,"axG",@progbits,_Z21device_test_warp_maskILj41EEvP10TestStatus,comdat
	.protected	_Z21device_test_warp_maskILj41EEvP10TestStatus ; -- Begin function _Z21device_test_warp_maskILj41EEvP10TestStatus
	.globl	_Z21device_test_warp_maskILj41EEvP10TestStatus
	.p2align	8
	.type	_Z21device_test_warp_maskILj41EEvP10TestStatus,@function
_Z21device_test_warp_maskILj41EEvP10TestStatus: ; @_Z21device_test_warp_maskILj41EEvP10TestStatus
; %bb.0:
	s_load_b64 s[0:1], s[0:1], 0x0
	v_mov_b32_e32 v1, 1
	s_waitcnt lgkmcnt(0)
	global_store_b8 v0, v1, s[0:1]
	s_nop 0
	s_sendmsg sendmsg(MSG_DEALLOC_VGPRS)
	s_endpgm
	.section	.rodata,"a",@progbits
	.p2align	6, 0x0
	.amdhsa_kernel _Z21device_test_warp_maskILj41EEvP10TestStatus
		.amdhsa_group_segment_fixed_size 0
		.amdhsa_private_segment_fixed_size 0
		.amdhsa_kernarg_size 8
		.amdhsa_user_sgpr_count 15
		.amdhsa_user_sgpr_dispatch_ptr 0
		.amdhsa_user_sgpr_queue_ptr 0
		.amdhsa_user_sgpr_kernarg_segment_ptr 1
		.amdhsa_user_sgpr_dispatch_id 0
		.amdhsa_user_sgpr_private_segment_size 0
		.amdhsa_wavefront_size32 1
		.amdhsa_uses_dynamic_stack 0
		.amdhsa_enable_private_segment 0
		.amdhsa_system_sgpr_workgroup_id_x 1
		.amdhsa_system_sgpr_workgroup_id_y 0
		.amdhsa_system_sgpr_workgroup_id_z 0
		.amdhsa_system_sgpr_workgroup_info 0
		.amdhsa_system_vgpr_workitem_id 0
		.amdhsa_next_free_vgpr 2
		.amdhsa_next_free_sgpr 2
		.amdhsa_reserve_vcc 0
		.amdhsa_float_round_mode_32 0
		.amdhsa_float_round_mode_16_64 0
		.amdhsa_float_denorm_mode_32 3
		.amdhsa_float_denorm_mode_16_64 3
		.amdhsa_dx10_clamp 1
		.amdhsa_ieee_mode 1
		.amdhsa_fp16_overflow 0
		.amdhsa_workgroup_processor_mode 1
		.amdhsa_memory_ordered 1
		.amdhsa_forward_progress 0
		.amdhsa_shared_vgpr_count 0
		.amdhsa_exception_fp_ieee_invalid_op 0
		.amdhsa_exception_fp_denorm_src 0
		.amdhsa_exception_fp_ieee_div_zero 0
		.amdhsa_exception_fp_ieee_overflow 0
		.amdhsa_exception_fp_ieee_underflow 0
		.amdhsa_exception_fp_ieee_inexact 0
		.amdhsa_exception_int_div_zero 0
	.end_amdhsa_kernel
	.section	.text._Z21device_test_warp_maskILj41EEvP10TestStatus,"axG",@progbits,_Z21device_test_warp_maskILj41EEvP10TestStatus,comdat
.Lfunc_end90:
	.size	_Z21device_test_warp_maskILj41EEvP10TestStatus, .Lfunc_end90-_Z21device_test_warp_maskILj41EEvP10TestStatus
                                        ; -- End function
	.section	.AMDGPU.csdata,"",@progbits
; Kernel info:
; codeLenInByte = 36
; NumSgprs: 2
; NumVgprs: 2
; ScratchSize: 0
; MemoryBound: 0
; FloatMode: 240
; IeeeMode: 1
; LDSByteSize: 0 bytes/workgroup (compile time only)
; SGPRBlocks: 0
; VGPRBlocks: 0
; NumSGPRsForWavesPerEU: 2
; NumVGPRsForWavesPerEU: 2
; Occupancy: 16
; WaveLimiterHint : 0
; COMPUTE_PGM_RSRC2:SCRATCH_EN: 0
; COMPUTE_PGM_RSRC2:USER_SGPR: 15
; COMPUTE_PGM_RSRC2:TRAP_HANDLER: 0
; COMPUTE_PGM_RSRC2:TGID_X_EN: 1
; COMPUTE_PGM_RSRC2:TGID_Y_EN: 0
; COMPUTE_PGM_RSRC2:TGID_Z_EN: 0
; COMPUTE_PGM_RSRC2:TIDIG_COMP_CNT: 0
	.section	.text._Z21device_test_warp_maskILj42EEvP10TestStatus,"axG",@progbits,_Z21device_test_warp_maskILj42EEvP10TestStatus,comdat
	.protected	_Z21device_test_warp_maskILj42EEvP10TestStatus ; -- Begin function _Z21device_test_warp_maskILj42EEvP10TestStatus
	.globl	_Z21device_test_warp_maskILj42EEvP10TestStatus
	.p2align	8
	.type	_Z21device_test_warp_maskILj42EEvP10TestStatus,@function
_Z21device_test_warp_maskILj42EEvP10TestStatus: ; @_Z21device_test_warp_maskILj42EEvP10TestStatus
; %bb.0:
	s_load_b64 s[0:1], s[0:1], 0x0
	v_mov_b32_e32 v1, 1
	s_waitcnt lgkmcnt(0)
	global_store_b8 v0, v1, s[0:1]
	s_nop 0
	s_sendmsg sendmsg(MSG_DEALLOC_VGPRS)
	s_endpgm
	.section	.rodata,"a",@progbits
	.p2align	6, 0x0
	.amdhsa_kernel _Z21device_test_warp_maskILj42EEvP10TestStatus
		.amdhsa_group_segment_fixed_size 0
		.amdhsa_private_segment_fixed_size 0
		.amdhsa_kernarg_size 8
		.amdhsa_user_sgpr_count 15
		.amdhsa_user_sgpr_dispatch_ptr 0
		.amdhsa_user_sgpr_queue_ptr 0
		.amdhsa_user_sgpr_kernarg_segment_ptr 1
		.amdhsa_user_sgpr_dispatch_id 0
		.amdhsa_user_sgpr_private_segment_size 0
		.amdhsa_wavefront_size32 1
		.amdhsa_uses_dynamic_stack 0
		.amdhsa_enable_private_segment 0
		.amdhsa_system_sgpr_workgroup_id_x 1
		.amdhsa_system_sgpr_workgroup_id_y 0
		.amdhsa_system_sgpr_workgroup_id_z 0
		.amdhsa_system_sgpr_workgroup_info 0
		.amdhsa_system_vgpr_workitem_id 0
		.amdhsa_next_free_vgpr 2
		.amdhsa_next_free_sgpr 2
		.amdhsa_reserve_vcc 0
		.amdhsa_float_round_mode_32 0
		.amdhsa_float_round_mode_16_64 0
		.amdhsa_float_denorm_mode_32 3
		.amdhsa_float_denorm_mode_16_64 3
		.amdhsa_dx10_clamp 1
		.amdhsa_ieee_mode 1
		.amdhsa_fp16_overflow 0
		.amdhsa_workgroup_processor_mode 1
		.amdhsa_memory_ordered 1
		.amdhsa_forward_progress 0
		.amdhsa_shared_vgpr_count 0
		.amdhsa_exception_fp_ieee_invalid_op 0
		.amdhsa_exception_fp_denorm_src 0
		.amdhsa_exception_fp_ieee_div_zero 0
		.amdhsa_exception_fp_ieee_overflow 0
		.amdhsa_exception_fp_ieee_underflow 0
		.amdhsa_exception_fp_ieee_inexact 0
		.amdhsa_exception_int_div_zero 0
	.end_amdhsa_kernel
	.section	.text._Z21device_test_warp_maskILj42EEvP10TestStatus,"axG",@progbits,_Z21device_test_warp_maskILj42EEvP10TestStatus,comdat
.Lfunc_end91:
	.size	_Z21device_test_warp_maskILj42EEvP10TestStatus, .Lfunc_end91-_Z21device_test_warp_maskILj42EEvP10TestStatus
                                        ; -- End function
	.section	.AMDGPU.csdata,"",@progbits
; Kernel info:
; codeLenInByte = 36
; NumSgprs: 2
; NumVgprs: 2
; ScratchSize: 0
; MemoryBound: 0
; FloatMode: 240
; IeeeMode: 1
; LDSByteSize: 0 bytes/workgroup (compile time only)
; SGPRBlocks: 0
; VGPRBlocks: 0
; NumSGPRsForWavesPerEU: 2
; NumVGPRsForWavesPerEU: 2
; Occupancy: 16
; WaveLimiterHint : 0
; COMPUTE_PGM_RSRC2:SCRATCH_EN: 0
; COMPUTE_PGM_RSRC2:USER_SGPR: 15
; COMPUTE_PGM_RSRC2:TRAP_HANDLER: 0
; COMPUTE_PGM_RSRC2:TGID_X_EN: 1
; COMPUTE_PGM_RSRC2:TGID_Y_EN: 0
; COMPUTE_PGM_RSRC2:TGID_Z_EN: 0
; COMPUTE_PGM_RSRC2:TIDIG_COMP_CNT: 0
	.section	.text._Z21device_test_warp_maskILj43EEvP10TestStatus,"axG",@progbits,_Z21device_test_warp_maskILj43EEvP10TestStatus,comdat
	.protected	_Z21device_test_warp_maskILj43EEvP10TestStatus ; -- Begin function _Z21device_test_warp_maskILj43EEvP10TestStatus
	.globl	_Z21device_test_warp_maskILj43EEvP10TestStatus
	.p2align	8
	.type	_Z21device_test_warp_maskILj43EEvP10TestStatus,@function
_Z21device_test_warp_maskILj43EEvP10TestStatus: ; @_Z21device_test_warp_maskILj43EEvP10TestStatus
; %bb.0:
	s_load_b64 s[0:1], s[0:1], 0x0
	v_mov_b32_e32 v1, 1
	s_waitcnt lgkmcnt(0)
	global_store_b8 v0, v1, s[0:1]
	s_nop 0
	s_sendmsg sendmsg(MSG_DEALLOC_VGPRS)
	s_endpgm
	.section	.rodata,"a",@progbits
	.p2align	6, 0x0
	.amdhsa_kernel _Z21device_test_warp_maskILj43EEvP10TestStatus
		.amdhsa_group_segment_fixed_size 0
		.amdhsa_private_segment_fixed_size 0
		.amdhsa_kernarg_size 8
		.amdhsa_user_sgpr_count 15
		.amdhsa_user_sgpr_dispatch_ptr 0
		.amdhsa_user_sgpr_queue_ptr 0
		.amdhsa_user_sgpr_kernarg_segment_ptr 1
		.amdhsa_user_sgpr_dispatch_id 0
		.amdhsa_user_sgpr_private_segment_size 0
		.amdhsa_wavefront_size32 1
		.amdhsa_uses_dynamic_stack 0
		.amdhsa_enable_private_segment 0
		.amdhsa_system_sgpr_workgroup_id_x 1
		.amdhsa_system_sgpr_workgroup_id_y 0
		.amdhsa_system_sgpr_workgroup_id_z 0
		.amdhsa_system_sgpr_workgroup_info 0
		.amdhsa_system_vgpr_workitem_id 0
		.amdhsa_next_free_vgpr 2
		.amdhsa_next_free_sgpr 2
		.amdhsa_reserve_vcc 0
		.amdhsa_float_round_mode_32 0
		.amdhsa_float_round_mode_16_64 0
		.amdhsa_float_denorm_mode_32 3
		.amdhsa_float_denorm_mode_16_64 3
		.amdhsa_dx10_clamp 1
		.amdhsa_ieee_mode 1
		.amdhsa_fp16_overflow 0
		.amdhsa_workgroup_processor_mode 1
		.amdhsa_memory_ordered 1
		.amdhsa_forward_progress 0
		.amdhsa_shared_vgpr_count 0
		.amdhsa_exception_fp_ieee_invalid_op 0
		.amdhsa_exception_fp_denorm_src 0
		.amdhsa_exception_fp_ieee_div_zero 0
		.amdhsa_exception_fp_ieee_overflow 0
		.amdhsa_exception_fp_ieee_underflow 0
		.amdhsa_exception_fp_ieee_inexact 0
		.amdhsa_exception_int_div_zero 0
	.end_amdhsa_kernel
	.section	.text._Z21device_test_warp_maskILj43EEvP10TestStatus,"axG",@progbits,_Z21device_test_warp_maskILj43EEvP10TestStatus,comdat
.Lfunc_end92:
	.size	_Z21device_test_warp_maskILj43EEvP10TestStatus, .Lfunc_end92-_Z21device_test_warp_maskILj43EEvP10TestStatus
                                        ; -- End function
	.section	.AMDGPU.csdata,"",@progbits
; Kernel info:
; codeLenInByte = 36
; NumSgprs: 2
; NumVgprs: 2
; ScratchSize: 0
; MemoryBound: 0
; FloatMode: 240
; IeeeMode: 1
; LDSByteSize: 0 bytes/workgroup (compile time only)
; SGPRBlocks: 0
; VGPRBlocks: 0
; NumSGPRsForWavesPerEU: 2
; NumVGPRsForWavesPerEU: 2
; Occupancy: 16
; WaveLimiterHint : 0
; COMPUTE_PGM_RSRC2:SCRATCH_EN: 0
; COMPUTE_PGM_RSRC2:USER_SGPR: 15
; COMPUTE_PGM_RSRC2:TRAP_HANDLER: 0
; COMPUTE_PGM_RSRC2:TGID_X_EN: 1
; COMPUTE_PGM_RSRC2:TGID_Y_EN: 0
; COMPUTE_PGM_RSRC2:TGID_Z_EN: 0
; COMPUTE_PGM_RSRC2:TIDIG_COMP_CNT: 0
	.section	.text._Z21device_test_warp_maskILj44EEvP10TestStatus,"axG",@progbits,_Z21device_test_warp_maskILj44EEvP10TestStatus,comdat
	.protected	_Z21device_test_warp_maskILj44EEvP10TestStatus ; -- Begin function _Z21device_test_warp_maskILj44EEvP10TestStatus
	.globl	_Z21device_test_warp_maskILj44EEvP10TestStatus
	.p2align	8
	.type	_Z21device_test_warp_maskILj44EEvP10TestStatus,@function
_Z21device_test_warp_maskILj44EEvP10TestStatus: ; @_Z21device_test_warp_maskILj44EEvP10TestStatus
; %bb.0:
	s_load_b64 s[0:1], s[0:1], 0x0
	v_mov_b32_e32 v1, 1
	s_waitcnt lgkmcnt(0)
	global_store_b8 v0, v1, s[0:1]
	s_nop 0
	s_sendmsg sendmsg(MSG_DEALLOC_VGPRS)
	s_endpgm
	.section	.rodata,"a",@progbits
	.p2align	6, 0x0
	.amdhsa_kernel _Z21device_test_warp_maskILj44EEvP10TestStatus
		.amdhsa_group_segment_fixed_size 0
		.amdhsa_private_segment_fixed_size 0
		.amdhsa_kernarg_size 8
		.amdhsa_user_sgpr_count 15
		.amdhsa_user_sgpr_dispatch_ptr 0
		.amdhsa_user_sgpr_queue_ptr 0
		.amdhsa_user_sgpr_kernarg_segment_ptr 1
		.amdhsa_user_sgpr_dispatch_id 0
		.amdhsa_user_sgpr_private_segment_size 0
		.amdhsa_wavefront_size32 1
		.amdhsa_uses_dynamic_stack 0
		.amdhsa_enable_private_segment 0
		.amdhsa_system_sgpr_workgroup_id_x 1
		.amdhsa_system_sgpr_workgroup_id_y 0
		.amdhsa_system_sgpr_workgroup_id_z 0
		.amdhsa_system_sgpr_workgroup_info 0
		.amdhsa_system_vgpr_workitem_id 0
		.amdhsa_next_free_vgpr 2
		.amdhsa_next_free_sgpr 2
		.amdhsa_reserve_vcc 0
		.amdhsa_float_round_mode_32 0
		.amdhsa_float_round_mode_16_64 0
		.amdhsa_float_denorm_mode_32 3
		.amdhsa_float_denorm_mode_16_64 3
		.amdhsa_dx10_clamp 1
		.amdhsa_ieee_mode 1
		.amdhsa_fp16_overflow 0
		.amdhsa_workgroup_processor_mode 1
		.amdhsa_memory_ordered 1
		.amdhsa_forward_progress 0
		.amdhsa_shared_vgpr_count 0
		.amdhsa_exception_fp_ieee_invalid_op 0
		.amdhsa_exception_fp_denorm_src 0
		.amdhsa_exception_fp_ieee_div_zero 0
		.amdhsa_exception_fp_ieee_overflow 0
		.amdhsa_exception_fp_ieee_underflow 0
		.amdhsa_exception_fp_ieee_inexact 0
		.amdhsa_exception_int_div_zero 0
	.end_amdhsa_kernel
	.section	.text._Z21device_test_warp_maskILj44EEvP10TestStatus,"axG",@progbits,_Z21device_test_warp_maskILj44EEvP10TestStatus,comdat
.Lfunc_end93:
	.size	_Z21device_test_warp_maskILj44EEvP10TestStatus, .Lfunc_end93-_Z21device_test_warp_maskILj44EEvP10TestStatus
                                        ; -- End function
	.section	.AMDGPU.csdata,"",@progbits
; Kernel info:
; codeLenInByte = 36
; NumSgprs: 2
; NumVgprs: 2
; ScratchSize: 0
; MemoryBound: 0
; FloatMode: 240
; IeeeMode: 1
; LDSByteSize: 0 bytes/workgroup (compile time only)
; SGPRBlocks: 0
; VGPRBlocks: 0
; NumSGPRsForWavesPerEU: 2
; NumVGPRsForWavesPerEU: 2
; Occupancy: 16
; WaveLimiterHint : 0
; COMPUTE_PGM_RSRC2:SCRATCH_EN: 0
; COMPUTE_PGM_RSRC2:USER_SGPR: 15
; COMPUTE_PGM_RSRC2:TRAP_HANDLER: 0
; COMPUTE_PGM_RSRC2:TGID_X_EN: 1
; COMPUTE_PGM_RSRC2:TGID_Y_EN: 0
; COMPUTE_PGM_RSRC2:TGID_Z_EN: 0
; COMPUTE_PGM_RSRC2:TIDIG_COMP_CNT: 0
	.section	.text._Z21device_test_warp_maskILj45EEvP10TestStatus,"axG",@progbits,_Z21device_test_warp_maskILj45EEvP10TestStatus,comdat
	.protected	_Z21device_test_warp_maskILj45EEvP10TestStatus ; -- Begin function _Z21device_test_warp_maskILj45EEvP10TestStatus
	.globl	_Z21device_test_warp_maskILj45EEvP10TestStatus
	.p2align	8
	.type	_Z21device_test_warp_maskILj45EEvP10TestStatus,@function
_Z21device_test_warp_maskILj45EEvP10TestStatus: ; @_Z21device_test_warp_maskILj45EEvP10TestStatus
; %bb.0:
	s_load_b64 s[0:1], s[0:1], 0x0
	v_mov_b32_e32 v1, 1
	s_waitcnt lgkmcnt(0)
	global_store_b8 v0, v1, s[0:1]
	s_nop 0
	s_sendmsg sendmsg(MSG_DEALLOC_VGPRS)
	s_endpgm
	.section	.rodata,"a",@progbits
	.p2align	6, 0x0
	.amdhsa_kernel _Z21device_test_warp_maskILj45EEvP10TestStatus
		.amdhsa_group_segment_fixed_size 0
		.amdhsa_private_segment_fixed_size 0
		.amdhsa_kernarg_size 8
		.amdhsa_user_sgpr_count 15
		.amdhsa_user_sgpr_dispatch_ptr 0
		.amdhsa_user_sgpr_queue_ptr 0
		.amdhsa_user_sgpr_kernarg_segment_ptr 1
		.amdhsa_user_sgpr_dispatch_id 0
		.amdhsa_user_sgpr_private_segment_size 0
		.amdhsa_wavefront_size32 1
		.amdhsa_uses_dynamic_stack 0
		.amdhsa_enable_private_segment 0
		.amdhsa_system_sgpr_workgroup_id_x 1
		.amdhsa_system_sgpr_workgroup_id_y 0
		.amdhsa_system_sgpr_workgroup_id_z 0
		.amdhsa_system_sgpr_workgroup_info 0
		.amdhsa_system_vgpr_workitem_id 0
		.amdhsa_next_free_vgpr 2
		.amdhsa_next_free_sgpr 2
		.amdhsa_reserve_vcc 0
		.amdhsa_float_round_mode_32 0
		.amdhsa_float_round_mode_16_64 0
		.amdhsa_float_denorm_mode_32 3
		.amdhsa_float_denorm_mode_16_64 3
		.amdhsa_dx10_clamp 1
		.amdhsa_ieee_mode 1
		.amdhsa_fp16_overflow 0
		.amdhsa_workgroup_processor_mode 1
		.amdhsa_memory_ordered 1
		.amdhsa_forward_progress 0
		.amdhsa_shared_vgpr_count 0
		.amdhsa_exception_fp_ieee_invalid_op 0
		.amdhsa_exception_fp_denorm_src 0
		.amdhsa_exception_fp_ieee_div_zero 0
		.amdhsa_exception_fp_ieee_overflow 0
		.amdhsa_exception_fp_ieee_underflow 0
		.amdhsa_exception_fp_ieee_inexact 0
		.amdhsa_exception_int_div_zero 0
	.end_amdhsa_kernel
	.section	.text._Z21device_test_warp_maskILj45EEvP10TestStatus,"axG",@progbits,_Z21device_test_warp_maskILj45EEvP10TestStatus,comdat
.Lfunc_end94:
	.size	_Z21device_test_warp_maskILj45EEvP10TestStatus, .Lfunc_end94-_Z21device_test_warp_maskILj45EEvP10TestStatus
                                        ; -- End function
	.section	.AMDGPU.csdata,"",@progbits
; Kernel info:
; codeLenInByte = 36
; NumSgprs: 2
; NumVgprs: 2
; ScratchSize: 0
; MemoryBound: 0
; FloatMode: 240
; IeeeMode: 1
; LDSByteSize: 0 bytes/workgroup (compile time only)
; SGPRBlocks: 0
; VGPRBlocks: 0
; NumSGPRsForWavesPerEU: 2
; NumVGPRsForWavesPerEU: 2
; Occupancy: 16
; WaveLimiterHint : 0
; COMPUTE_PGM_RSRC2:SCRATCH_EN: 0
; COMPUTE_PGM_RSRC2:USER_SGPR: 15
; COMPUTE_PGM_RSRC2:TRAP_HANDLER: 0
; COMPUTE_PGM_RSRC2:TGID_X_EN: 1
; COMPUTE_PGM_RSRC2:TGID_Y_EN: 0
; COMPUTE_PGM_RSRC2:TGID_Z_EN: 0
; COMPUTE_PGM_RSRC2:TIDIG_COMP_CNT: 0
	.section	.text._Z21device_test_warp_maskILj46EEvP10TestStatus,"axG",@progbits,_Z21device_test_warp_maskILj46EEvP10TestStatus,comdat
	.protected	_Z21device_test_warp_maskILj46EEvP10TestStatus ; -- Begin function _Z21device_test_warp_maskILj46EEvP10TestStatus
	.globl	_Z21device_test_warp_maskILj46EEvP10TestStatus
	.p2align	8
	.type	_Z21device_test_warp_maskILj46EEvP10TestStatus,@function
_Z21device_test_warp_maskILj46EEvP10TestStatus: ; @_Z21device_test_warp_maskILj46EEvP10TestStatus
; %bb.0:
	s_load_b64 s[0:1], s[0:1], 0x0
	v_mov_b32_e32 v1, 1
	s_waitcnt lgkmcnt(0)
	global_store_b8 v0, v1, s[0:1]
	s_nop 0
	s_sendmsg sendmsg(MSG_DEALLOC_VGPRS)
	s_endpgm
	.section	.rodata,"a",@progbits
	.p2align	6, 0x0
	.amdhsa_kernel _Z21device_test_warp_maskILj46EEvP10TestStatus
		.amdhsa_group_segment_fixed_size 0
		.amdhsa_private_segment_fixed_size 0
		.amdhsa_kernarg_size 8
		.amdhsa_user_sgpr_count 15
		.amdhsa_user_sgpr_dispatch_ptr 0
		.amdhsa_user_sgpr_queue_ptr 0
		.amdhsa_user_sgpr_kernarg_segment_ptr 1
		.amdhsa_user_sgpr_dispatch_id 0
		.amdhsa_user_sgpr_private_segment_size 0
		.amdhsa_wavefront_size32 1
		.amdhsa_uses_dynamic_stack 0
		.amdhsa_enable_private_segment 0
		.amdhsa_system_sgpr_workgroup_id_x 1
		.amdhsa_system_sgpr_workgroup_id_y 0
		.amdhsa_system_sgpr_workgroup_id_z 0
		.amdhsa_system_sgpr_workgroup_info 0
		.amdhsa_system_vgpr_workitem_id 0
		.amdhsa_next_free_vgpr 2
		.amdhsa_next_free_sgpr 2
		.amdhsa_reserve_vcc 0
		.amdhsa_float_round_mode_32 0
		.amdhsa_float_round_mode_16_64 0
		.amdhsa_float_denorm_mode_32 3
		.amdhsa_float_denorm_mode_16_64 3
		.amdhsa_dx10_clamp 1
		.amdhsa_ieee_mode 1
		.amdhsa_fp16_overflow 0
		.amdhsa_workgroup_processor_mode 1
		.amdhsa_memory_ordered 1
		.amdhsa_forward_progress 0
		.amdhsa_shared_vgpr_count 0
		.amdhsa_exception_fp_ieee_invalid_op 0
		.amdhsa_exception_fp_denorm_src 0
		.amdhsa_exception_fp_ieee_div_zero 0
		.amdhsa_exception_fp_ieee_overflow 0
		.amdhsa_exception_fp_ieee_underflow 0
		.amdhsa_exception_fp_ieee_inexact 0
		.amdhsa_exception_int_div_zero 0
	.end_amdhsa_kernel
	.section	.text._Z21device_test_warp_maskILj46EEvP10TestStatus,"axG",@progbits,_Z21device_test_warp_maskILj46EEvP10TestStatus,comdat
.Lfunc_end95:
	.size	_Z21device_test_warp_maskILj46EEvP10TestStatus, .Lfunc_end95-_Z21device_test_warp_maskILj46EEvP10TestStatus
                                        ; -- End function
	.section	.AMDGPU.csdata,"",@progbits
; Kernel info:
; codeLenInByte = 36
; NumSgprs: 2
; NumVgprs: 2
; ScratchSize: 0
; MemoryBound: 0
; FloatMode: 240
; IeeeMode: 1
; LDSByteSize: 0 bytes/workgroup (compile time only)
; SGPRBlocks: 0
; VGPRBlocks: 0
; NumSGPRsForWavesPerEU: 2
; NumVGPRsForWavesPerEU: 2
; Occupancy: 16
; WaveLimiterHint : 0
; COMPUTE_PGM_RSRC2:SCRATCH_EN: 0
; COMPUTE_PGM_RSRC2:USER_SGPR: 15
; COMPUTE_PGM_RSRC2:TRAP_HANDLER: 0
; COMPUTE_PGM_RSRC2:TGID_X_EN: 1
; COMPUTE_PGM_RSRC2:TGID_Y_EN: 0
; COMPUTE_PGM_RSRC2:TGID_Z_EN: 0
; COMPUTE_PGM_RSRC2:TIDIG_COMP_CNT: 0
	.section	.text._Z21device_test_warp_maskILj47EEvP10TestStatus,"axG",@progbits,_Z21device_test_warp_maskILj47EEvP10TestStatus,comdat
	.protected	_Z21device_test_warp_maskILj47EEvP10TestStatus ; -- Begin function _Z21device_test_warp_maskILj47EEvP10TestStatus
	.globl	_Z21device_test_warp_maskILj47EEvP10TestStatus
	.p2align	8
	.type	_Z21device_test_warp_maskILj47EEvP10TestStatus,@function
_Z21device_test_warp_maskILj47EEvP10TestStatus: ; @_Z21device_test_warp_maskILj47EEvP10TestStatus
; %bb.0:
	s_load_b64 s[0:1], s[0:1], 0x0
	v_mov_b32_e32 v1, 1
	s_waitcnt lgkmcnt(0)
	global_store_b8 v0, v1, s[0:1]
	s_nop 0
	s_sendmsg sendmsg(MSG_DEALLOC_VGPRS)
	s_endpgm
	.section	.rodata,"a",@progbits
	.p2align	6, 0x0
	.amdhsa_kernel _Z21device_test_warp_maskILj47EEvP10TestStatus
		.amdhsa_group_segment_fixed_size 0
		.amdhsa_private_segment_fixed_size 0
		.amdhsa_kernarg_size 8
		.amdhsa_user_sgpr_count 15
		.amdhsa_user_sgpr_dispatch_ptr 0
		.amdhsa_user_sgpr_queue_ptr 0
		.amdhsa_user_sgpr_kernarg_segment_ptr 1
		.amdhsa_user_sgpr_dispatch_id 0
		.amdhsa_user_sgpr_private_segment_size 0
		.amdhsa_wavefront_size32 1
		.amdhsa_uses_dynamic_stack 0
		.amdhsa_enable_private_segment 0
		.amdhsa_system_sgpr_workgroup_id_x 1
		.amdhsa_system_sgpr_workgroup_id_y 0
		.amdhsa_system_sgpr_workgroup_id_z 0
		.amdhsa_system_sgpr_workgroup_info 0
		.amdhsa_system_vgpr_workitem_id 0
		.amdhsa_next_free_vgpr 2
		.amdhsa_next_free_sgpr 2
		.amdhsa_reserve_vcc 0
		.amdhsa_float_round_mode_32 0
		.amdhsa_float_round_mode_16_64 0
		.amdhsa_float_denorm_mode_32 3
		.amdhsa_float_denorm_mode_16_64 3
		.amdhsa_dx10_clamp 1
		.amdhsa_ieee_mode 1
		.amdhsa_fp16_overflow 0
		.amdhsa_workgroup_processor_mode 1
		.amdhsa_memory_ordered 1
		.amdhsa_forward_progress 0
		.amdhsa_shared_vgpr_count 0
		.amdhsa_exception_fp_ieee_invalid_op 0
		.amdhsa_exception_fp_denorm_src 0
		.amdhsa_exception_fp_ieee_div_zero 0
		.amdhsa_exception_fp_ieee_overflow 0
		.amdhsa_exception_fp_ieee_underflow 0
		.amdhsa_exception_fp_ieee_inexact 0
		.amdhsa_exception_int_div_zero 0
	.end_amdhsa_kernel
	.section	.text._Z21device_test_warp_maskILj47EEvP10TestStatus,"axG",@progbits,_Z21device_test_warp_maskILj47EEvP10TestStatus,comdat
.Lfunc_end96:
	.size	_Z21device_test_warp_maskILj47EEvP10TestStatus, .Lfunc_end96-_Z21device_test_warp_maskILj47EEvP10TestStatus
                                        ; -- End function
	.section	.AMDGPU.csdata,"",@progbits
; Kernel info:
; codeLenInByte = 36
; NumSgprs: 2
; NumVgprs: 2
; ScratchSize: 0
; MemoryBound: 0
; FloatMode: 240
; IeeeMode: 1
; LDSByteSize: 0 bytes/workgroup (compile time only)
; SGPRBlocks: 0
; VGPRBlocks: 0
; NumSGPRsForWavesPerEU: 2
; NumVGPRsForWavesPerEU: 2
; Occupancy: 16
; WaveLimiterHint : 0
; COMPUTE_PGM_RSRC2:SCRATCH_EN: 0
; COMPUTE_PGM_RSRC2:USER_SGPR: 15
; COMPUTE_PGM_RSRC2:TRAP_HANDLER: 0
; COMPUTE_PGM_RSRC2:TGID_X_EN: 1
; COMPUTE_PGM_RSRC2:TGID_Y_EN: 0
; COMPUTE_PGM_RSRC2:TGID_Z_EN: 0
; COMPUTE_PGM_RSRC2:TIDIG_COMP_CNT: 0
	.section	.text._Z21device_test_warp_maskILj48EEvP10TestStatus,"axG",@progbits,_Z21device_test_warp_maskILj48EEvP10TestStatus,comdat
	.protected	_Z21device_test_warp_maskILj48EEvP10TestStatus ; -- Begin function _Z21device_test_warp_maskILj48EEvP10TestStatus
	.globl	_Z21device_test_warp_maskILj48EEvP10TestStatus
	.p2align	8
	.type	_Z21device_test_warp_maskILj48EEvP10TestStatus,@function
_Z21device_test_warp_maskILj48EEvP10TestStatus: ; @_Z21device_test_warp_maskILj48EEvP10TestStatus
; %bb.0:
	s_load_b64 s[0:1], s[0:1], 0x0
	v_mov_b32_e32 v1, 1
	s_waitcnt lgkmcnt(0)
	global_store_b8 v0, v1, s[0:1]
	s_nop 0
	s_sendmsg sendmsg(MSG_DEALLOC_VGPRS)
	s_endpgm
	.section	.rodata,"a",@progbits
	.p2align	6, 0x0
	.amdhsa_kernel _Z21device_test_warp_maskILj48EEvP10TestStatus
		.amdhsa_group_segment_fixed_size 0
		.amdhsa_private_segment_fixed_size 0
		.amdhsa_kernarg_size 8
		.amdhsa_user_sgpr_count 15
		.amdhsa_user_sgpr_dispatch_ptr 0
		.amdhsa_user_sgpr_queue_ptr 0
		.amdhsa_user_sgpr_kernarg_segment_ptr 1
		.amdhsa_user_sgpr_dispatch_id 0
		.amdhsa_user_sgpr_private_segment_size 0
		.amdhsa_wavefront_size32 1
		.amdhsa_uses_dynamic_stack 0
		.amdhsa_enable_private_segment 0
		.amdhsa_system_sgpr_workgroup_id_x 1
		.amdhsa_system_sgpr_workgroup_id_y 0
		.amdhsa_system_sgpr_workgroup_id_z 0
		.amdhsa_system_sgpr_workgroup_info 0
		.amdhsa_system_vgpr_workitem_id 0
		.amdhsa_next_free_vgpr 2
		.amdhsa_next_free_sgpr 2
		.amdhsa_reserve_vcc 0
		.amdhsa_float_round_mode_32 0
		.amdhsa_float_round_mode_16_64 0
		.amdhsa_float_denorm_mode_32 3
		.amdhsa_float_denorm_mode_16_64 3
		.amdhsa_dx10_clamp 1
		.amdhsa_ieee_mode 1
		.amdhsa_fp16_overflow 0
		.amdhsa_workgroup_processor_mode 1
		.amdhsa_memory_ordered 1
		.amdhsa_forward_progress 0
		.amdhsa_shared_vgpr_count 0
		.amdhsa_exception_fp_ieee_invalid_op 0
		.amdhsa_exception_fp_denorm_src 0
		.amdhsa_exception_fp_ieee_div_zero 0
		.amdhsa_exception_fp_ieee_overflow 0
		.amdhsa_exception_fp_ieee_underflow 0
		.amdhsa_exception_fp_ieee_inexact 0
		.amdhsa_exception_int_div_zero 0
	.end_amdhsa_kernel
	.section	.text._Z21device_test_warp_maskILj48EEvP10TestStatus,"axG",@progbits,_Z21device_test_warp_maskILj48EEvP10TestStatus,comdat
.Lfunc_end97:
	.size	_Z21device_test_warp_maskILj48EEvP10TestStatus, .Lfunc_end97-_Z21device_test_warp_maskILj48EEvP10TestStatus
                                        ; -- End function
	.section	.AMDGPU.csdata,"",@progbits
; Kernel info:
; codeLenInByte = 36
; NumSgprs: 2
; NumVgprs: 2
; ScratchSize: 0
; MemoryBound: 0
; FloatMode: 240
; IeeeMode: 1
; LDSByteSize: 0 bytes/workgroup (compile time only)
; SGPRBlocks: 0
; VGPRBlocks: 0
; NumSGPRsForWavesPerEU: 2
; NumVGPRsForWavesPerEU: 2
; Occupancy: 16
; WaveLimiterHint : 0
; COMPUTE_PGM_RSRC2:SCRATCH_EN: 0
; COMPUTE_PGM_RSRC2:USER_SGPR: 15
; COMPUTE_PGM_RSRC2:TRAP_HANDLER: 0
; COMPUTE_PGM_RSRC2:TGID_X_EN: 1
; COMPUTE_PGM_RSRC2:TGID_Y_EN: 0
; COMPUTE_PGM_RSRC2:TGID_Z_EN: 0
; COMPUTE_PGM_RSRC2:TIDIG_COMP_CNT: 0
	.section	.text._Z21device_test_warp_maskILj49EEvP10TestStatus,"axG",@progbits,_Z21device_test_warp_maskILj49EEvP10TestStatus,comdat
	.protected	_Z21device_test_warp_maskILj49EEvP10TestStatus ; -- Begin function _Z21device_test_warp_maskILj49EEvP10TestStatus
	.globl	_Z21device_test_warp_maskILj49EEvP10TestStatus
	.p2align	8
	.type	_Z21device_test_warp_maskILj49EEvP10TestStatus,@function
_Z21device_test_warp_maskILj49EEvP10TestStatus: ; @_Z21device_test_warp_maskILj49EEvP10TestStatus
; %bb.0:
	s_load_b64 s[0:1], s[0:1], 0x0
	v_mov_b32_e32 v1, 1
	s_waitcnt lgkmcnt(0)
	global_store_b8 v0, v1, s[0:1]
	s_nop 0
	s_sendmsg sendmsg(MSG_DEALLOC_VGPRS)
	s_endpgm
	.section	.rodata,"a",@progbits
	.p2align	6, 0x0
	.amdhsa_kernel _Z21device_test_warp_maskILj49EEvP10TestStatus
		.amdhsa_group_segment_fixed_size 0
		.amdhsa_private_segment_fixed_size 0
		.amdhsa_kernarg_size 8
		.amdhsa_user_sgpr_count 15
		.amdhsa_user_sgpr_dispatch_ptr 0
		.amdhsa_user_sgpr_queue_ptr 0
		.amdhsa_user_sgpr_kernarg_segment_ptr 1
		.amdhsa_user_sgpr_dispatch_id 0
		.amdhsa_user_sgpr_private_segment_size 0
		.amdhsa_wavefront_size32 1
		.amdhsa_uses_dynamic_stack 0
		.amdhsa_enable_private_segment 0
		.amdhsa_system_sgpr_workgroup_id_x 1
		.amdhsa_system_sgpr_workgroup_id_y 0
		.amdhsa_system_sgpr_workgroup_id_z 0
		.amdhsa_system_sgpr_workgroup_info 0
		.amdhsa_system_vgpr_workitem_id 0
		.amdhsa_next_free_vgpr 2
		.amdhsa_next_free_sgpr 2
		.amdhsa_reserve_vcc 0
		.amdhsa_float_round_mode_32 0
		.amdhsa_float_round_mode_16_64 0
		.amdhsa_float_denorm_mode_32 3
		.amdhsa_float_denorm_mode_16_64 3
		.amdhsa_dx10_clamp 1
		.amdhsa_ieee_mode 1
		.amdhsa_fp16_overflow 0
		.amdhsa_workgroup_processor_mode 1
		.amdhsa_memory_ordered 1
		.amdhsa_forward_progress 0
		.amdhsa_shared_vgpr_count 0
		.amdhsa_exception_fp_ieee_invalid_op 0
		.amdhsa_exception_fp_denorm_src 0
		.amdhsa_exception_fp_ieee_div_zero 0
		.amdhsa_exception_fp_ieee_overflow 0
		.amdhsa_exception_fp_ieee_underflow 0
		.amdhsa_exception_fp_ieee_inexact 0
		.amdhsa_exception_int_div_zero 0
	.end_amdhsa_kernel
	.section	.text._Z21device_test_warp_maskILj49EEvP10TestStatus,"axG",@progbits,_Z21device_test_warp_maskILj49EEvP10TestStatus,comdat
.Lfunc_end98:
	.size	_Z21device_test_warp_maskILj49EEvP10TestStatus, .Lfunc_end98-_Z21device_test_warp_maskILj49EEvP10TestStatus
                                        ; -- End function
	.section	.AMDGPU.csdata,"",@progbits
; Kernel info:
; codeLenInByte = 36
; NumSgprs: 2
; NumVgprs: 2
; ScratchSize: 0
; MemoryBound: 0
; FloatMode: 240
; IeeeMode: 1
; LDSByteSize: 0 bytes/workgroup (compile time only)
; SGPRBlocks: 0
; VGPRBlocks: 0
; NumSGPRsForWavesPerEU: 2
; NumVGPRsForWavesPerEU: 2
; Occupancy: 16
; WaveLimiterHint : 0
; COMPUTE_PGM_RSRC2:SCRATCH_EN: 0
; COMPUTE_PGM_RSRC2:USER_SGPR: 15
; COMPUTE_PGM_RSRC2:TRAP_HANDLER: 0
; COMPUTE_PGM_RSRC2:TGID_X_EN: 1
; COMPUTE_PGM_RSRC2:TGID_Y_EN: 0
; COMPUTE_PGM_RSRC2:TGID_Z_EN: 0
; COMPUTE_PGM_RSRC2:TIDIG_COMP_CNT: 0
	.section	.text._Z21device_test_warp_maskILj50EEvP10TestStatus,"axG",@progbits,_Z21device_test_warp_maskILj50EEvP10TestStatus,comdat
	.protected	_Z21device_test_warp_maskILj50EEvP10TestStatus ; -- Begin function _Z21device_test_warp_maskILj50EEvP10TestStatus
	.globl	_Z21device_test_warp_maskILj50EEvP10TestStatus
	.p2align	8
	.type	_Z21device_test_warp_maskILj50EEvP10TestStatus,@function
_Z21device_test_warp_maskILj50EEvP10TestStatus: ; @_Z21device_test_warp_maskILj50EEvP10TestStatus
; %bb.0:
	s_load_b64 s[0:1], s[0:1], 0x0
	v_mov_b32_e32 v1, 1
	s_waitcnt lgkmcnt(0)
	global_store_b8 v0, v1, s[0:1]
	s_nop 0
	s_sendmsg sendmsg(MSG_DEALLOC_VGPRS)
	s_endpgm
	.section	.rodata,"a",@progbits
	.p2align	6, 0x0
	.amdhsa_kernel _Z21device_test_warp_maskILj50EEvP10TestStatus
		.amdhsa_group_segment_fixed_size 0
		.amdhsa_private_segment_fixed_size 0
		.amdhsa_kernarg_size 8
		.amdhsa_user_sgpr_count 15
		.amdhsa_user_sgpr_dispatch_ptr 0
		.amdhsa_user_sgpr_queue_ptr 0
		.amdhsa_user_sgpr_kernarg_segment_ptr 1
		.amdhsa_user_sgpr_dispatch_id 0
		.amdhsa_user_sgpr_private_segment_size 0
		.amdhsa_wavefront_size32 1
		.amdhsa_uses_dynamic_stack 0
		.amdhsa_enable_private_segment 0
		.amdhsa_system_sgpr_workgroup_id_x 1
		.amdhsa_system_sgpr_workgroup_id_y 0
		.amdhsa_system_sgpr_workgroup_id_z 0
		.amdhsa_system_sgpr_workgroup_info 0
		.amdhsa_system_vgpr_workitem_id 0
		.amdhsa_next_free_vgpr 2
		.amdhsa_next_free_sgpr 2
		.amdhsa_reserve_vcc 0
		.amdhsa_float_round_mode_32 0
		.amdhsa_float_round_mode_16_64 0
		.amdhsa_float_denorm_mode_32 3
		.amdhsa_float_denorm_mode_16_64 3
		.amdhsa_dx10_clamp 1
		.amdhsa_ieee_mode 1
		.amdhsa_fp16_overflow 0
		.amdhsa_workgroup_processor_mode 1
		.amdhsa_memory_ordered 1
		.amdhsa_forward_progress 0
		.amdhsa_shared_vgpr_count 0
		.amdhsa_exception_fp_ieee_invalid_op 0
		.amdhsa_exception_fp_denorm_src 0
		.amdhsa_exception_fp_ieee_div_zero 0
		.amdhsa_exception_fp_ieee_overflow 0
		.amdhsa_exception_fp_ieee_underflow 0
		.amdhsa_exception_fp_ieee_inexact 0
		.amdhsa_exception_int_div_zero 0
	.end_amdhsa_kernel
	.section	.text._Z21device_test_warp_maskILj50EEvP10TestStatus,"axG",@progbits,_Z21device_test_warp_maskILj50EEvP10TestStatus,comdat
.Lfunc_end99:
	.size	_Z21device_test_warp_maskILj50EEvP10TestStatus, .Lfunc_end99-_Z21device_test_warp_maskILj50EEvP10TestStatus
                                        ; -- End function
	.section	.AMDGPU.csdata,"",@progbits
; Kernel info:
; codeLenInByte = 36
; NumSgprs: 2
; NumVgprs: 2
; ScratchSize: 0
; MemoryBound: 0
; FloatMode: 240
; IeeeMode: 1
; LDSByteSize: 0 bytes/workgroup (compile time only)
; SGPRBlocks: 0
; VGPRBlocks: 0
; NumSGPRsForWavesPerEU: 2
; NumVGPRsForWavesPerEU: 2
; Occupancy: 16
; WaveLimiterHint : 0
; COMPUTE_PGM_RSRC2:SCRATCH_EN: 0
; COMPUTE_PGM_RSRC2:USER_SGPR: 15
; COMPUTE_PGM_RSRC2:TRAP_HANDLER: 0
; COMPUTE_PGM_RSRC2:TGID_X_EN: 1
; COMPUTE_PGM_RSRC2:TGID_Y_EN: 0
; COMPUTE_PGM_RSRC2:TGID_Z_EN: 0
; COMPUTE_PGM_RSRC2:TIDIG_COMP_CNT: 0
	.section	.text._Z21device_test_warp_maskILj51EEvP10TestStatus,"axG",@progbits,_Z21device_test_warp_maskILj51EEvP10TestStatus,comdat
	.protected	_Z21device_test_warp_maskILj51EEvP10TestStatus ; -- Begin function _Z21device_test_warp_maskILj51EEvP10TestStatus
	.globl	_Z21device_test_warp_maskILj51EEvP10TestStatus
	.p2align	8
	.type	_Z21device_test_warp_maskILj51EEvP10TestStatus,@function
_Z21device_test_warp_maskILj51EEvP10TestStatus: ; @_Z21device_test_warp_maskILj51EEvP10TestStatus
; %bb.0:
	s_load_b64 s[0:1], s[0:1], 0x0
	v_mov_b32_e32 v1, 1
	s_waitcnt lgkmcnt(0)
	global_store_b8 v0, v1, s[0:1]
	s_nop 0
	s_sendmsg sendmsg(MSG_DEALLOC_VGPRS)
	s_endpgm
	.section	.rodata,"a",@progbits
	.p2align	6, 0x0
	.amdhsa_kernel _Z21device_test_warp_maskILj51EEvP10TestStatus
		.amdhsa_group_segment_fixed_size 0
		.amdhsa_private_segment_fixed_size 0
		.amdhsa_kernarg_size 8
		.amdhsa_user_sgpr_count 15
		.amdhsa_user_sgpr_dispatch_ptr 0
		.amdhsa_user_sgpr_queue_ptr 0
		.amdhsa_user_sgpr_kernarg_segment_ptr 1
		.amdhsa_user_sgpr_dispatch_id 0
		.amdhsa_user_sgpr_private_segment_size 0
		.amdhsa_wavefront_size32 1
		.amdhsa_uses_dynamic_stack 0
		.amdhsa_enable_private_segment 0
		.amdhsa_system_sgpr_workgroup_id_x 1
		.amdhsa_system_sgpr_workgroup_id_y 0
		.amdhsa_system_sgpr_workgroup_id_z 0
		.amdhsa_system_sgpr_workgroup_info 0
		.amdhsa_system_vgpr_workitem_id 0
		.amdhsa_next_free_vgpr 2
		.amdhsa_next_free_sgpr 2
		.amdhsa_reserve_vcc 0
		.amdhsa_float_round_mode_32 0
		.amdhsa_float_round_mode_16_64 0
		.amdhsa_float_denorm_mode_32 3
		.amdhsa_float_denorm_mode_16_64 3
		.amdhsa_dx10_clamp 1
		.amdhsa_ieee_mode 1
		.amdhsa_fp16_overflow 0
		.amdhsa_workgroup_processor_mode 1
		.amdhsa_memory_ordered 1
		.amdhsa_forward_progress 0
		.amdhsa_shared_vgpr_count 0
		.amdhsa_exception_fp_ieee_invalid_op 0
		.amdhsa_exception_fp_denorm_src 0
		.amdhsa_exception_fp_ieee_div_zero 0
		.amdhsa_exception_fp_ieee_overflow 0
		.amdhsa_exception_fp_ieee_underflow 0
		.amdhsa_exception_fp_ieee_inexact 0
		.amdhsa_exception_int_div_zero 0
	.end_amdhsa_kernel
	.section	.text._Z21device_test_warp_maskILj51EEvP10TestStatus,"axG",@progbits,_Z21device_test_warp_maskILj51EEvP10TestStatus,comdat
.Lfunc_end100:
	.size	_Z21device_test_warp_maskILj51EEvP10TestStatus, .Lfunc_end100-_Z21device_test_warp_maskILj51EEvP10TestStatus
                                        ; -- End function
	.section	.AMDGPU.csdata,"",@progbits
; Kernel info:
; codeLenInByte = 36
; NumSgprs: 2
; NumVgprs: 2
; ScratchSize: 0
; MemoryBound: 0
; FloatMode: 240
; IeeeMode: 1
; LDSByteSize: 0 bytes/workgroup (compile time only)
; SGPRBlocks: 0
; VGPRBlocks: 0
; NumSGPRsForWavesPerEU: 2
; NumVGPRsForWavesPerEU: 2
; Occupancy: 16
; WaveLimiterHint : 0
; COMPUTE_PGM_RSRC2:SCRATCH_EN: 0
; COMPUTE_PGM_RSRC2:USER_SGPR: 15
; COMPUTE_PGM_RSRC2:TRAP_HANDLER: 0
; COMPUTE_PGM_RSRC2:TGID_X_EN: 1
; COMPUTE_PGM_RSRC2:TGID_Y_EN: 0
; COMPUTE_PGM_RSRC2:TGID_Z_EN: 0
; COMPUTE_PGM_RSRC2:TIDIG_COMP_CNT: 0
	.section	.text._Z21device_test_warp_maskILj52EEvP10TestStatus,"axG",@progbits,_Z21device_test_warp_maskILj52EEvP10TestStatus,comdat
	.protected	_Z21device_test_warp_maskILj52EEvP10TestStatus ; -- Begin function _Z21device_test_warp_maskILj52EEvP10TestStatus
	.globl	_Z21device_test_warp_maskILj52EEvP10TestStatus
	.p2align	8
	.type	_Z21device_test_warp_maskILj52EEvP10TestStatus,@function
_Z21device_test_warp_maskILj52EEvP10TestStatus: ; @_Z21device_test_warp_maskILj52EEvP10TestStatus
; %bb.0:
	s_load_b64 s[0:1], s[0:1], 0x0
	v_mov_b32_e32 v1, 1
	s_waitcnt lgkmcnt(0)
	global_store_b8 v0, v1, s[0:1]
	s_nop 0
	s_sendmsg sendmsg(MSG_DEALLOC_VGPRS)
	s_endpgm
	.section	.rodata,"a",@progbits
	.p2align	6, 0x0
	.amdhsa_kernel _Z21device_test_warp_maskILj52EEvP10TestStatus
		.amdhsa_group_segment_fixed_size 0
		.amdhsa_private_segment_fixed_size 0
		.amdhsa_kernarg_size 8
		.amdhsa_user_sgpr_count 15
		.amdhsa_user_sgpr_dispatch_ptr 0
		.amdhsa_user_sgpr_queue_ptr 0
		.amdhsa_user_sgpr_kernarg_segment_ptr 1
		.amdhsa_user_sgpr_dispatch_id 0
		.amdhsa_user_sgpr_private_segment_size 0
		.amdhsa_wavefront_size32 1
		.amdhsa_uses_dynamic_stack 0
		.amdhsa_enable_private_segment 0
		.amdhsa_system_sgpr_workgroup_id_x 1
		.amdhsa_system_sgpr_workgroup_id_y 0
		.amdhsa_system_sgpr_workgroup_id_z 0
		.amdhsa_system_sgpr_workgroup_info 0
		.amdhsa_system_vgpr_workitem_id 0
		.amdhsa_next_free_vgpr 2
		.amdhsa_next_free_sgpr 2
		.amdhsa_reserve_vcc 0
		.amdhsa_float_round_mode_32 0
		.amdhsa_float_round_mode_16_64 0
		.amdhsa_float_denorm_mode_32 3
		.amdhsa_float_denorm_mode_16_64 3
		.amdhsa_dx10_clamp 1
		.amdhsa_ieee_mode 1
		.amdhsa_fp16_overflow 0
		.amdhsa_workgroup_processor_mode 1
		.amdhsa_memory_ordered 1
		.amdhsa_forward_progress 0
		.amdhsa_shared_vgpr_count 0
		.amdhsa_exception_fp_ieee_invalid_op 0
		.amdhsa_exception_fp_denorm_src 0
		.amdhsa_exception_fp_ieee_div_zero 0
		.amdhsa_exception_fp_ieee_overflow 0
		.amdhsa_exception_fp_ieee_underflow 0
		.amdhsa_exception_fp_ieee_inexact 0
		.amdhsa_exception_int_div_zero 0
	.end_amdhsa_kernel
	.section	.text._Z21device_test_warp_maskILj52EEvP10TestStatus,"axG",@progbits,_Z21device_test_warp_maskILj52EEvP10TestStatus,comdat
.Lfunc_end101:
	.size	_Z21device_test_warp_maskILj52EEvP10TestStatus, .Lfunc_end101-_Z21device_test_warp_maskILj52EEvP10TestStatus
                                        ; -- End function
	.section	.AMDGPU.csdata,"",@progbits
; Kernel info:
; codeLenInByte = 36
; NumSgprs: 2
; NumVgprs: 2
; ScratchSize: 0
; MemoryBound: 0
; FloatMode: 240
; IeeeMode: 1
; LDSByteSize: 0 bytes/workgroup (compile time only)
; SGPRBlocks: 0
; VGPRBlocks: 0
; NumSGPRsForWavesPerEU: 2
; NumVGPRsForWavesPerEU: 2
; Occupancy: 16
; WaveLimiterHint : 0
; COMPUTE_PGM_RSRC2:SCRATCH_EN: 0
; COMPUTE_PGM_RSRC2:USER_SGPR: 15
; COMPUTE_PGM_RSRC2:TRAP_HANDLER: 0
; COMPUTE_PGM_RSRC2:TGID_X_EN: 1
; COMPUTE_PGM_RSRC2:TGID_Y_EN: 0
; COMPUTE_PGM_RSRC2:TGID_Z_EN: 0
; COMPUTE_PGM_RSRC2:TIDIG_COMP_CNT: 0
	.section	.text._Z21device_test_warp_maskILj53EEvP10TestStatus,"axG",@progbits,_Z21device_test_warp_maskILj53EEvP10TestStatus,comdat
	.protected	_Z21device_test_warp_maskILj53EEvP10TestStatus ; -- Begin function _Z21device_test_warp_maskILj53EEvP10TestStatus
	.globl	_Z21device_test_warp_maskILj53EEvP10TestStatus
	.p2align	8
	.type	_Z21device_test_warp_maskILj53EEvP10TestStatus,@function
_Z21device_test_warp_maskILj53EEvP10TestStatus: ; @_Z21device_test_warp_maskILj53EEvP10TestStatus
; %bb.0:
	s_load_b64 s[0:1], s[0:1], 0x0
	v_mov_b32_e32 v1, 1
	s_waitcnt lgkmcnt(0)
	global_store_b8 v0, v1, s[0:1]
	s_nop 0
	s_sendmsg sendmsg(MSG_DEALLOC_VGPRS)
	s_endpgm
	.section	.rodata,"a",@progbits
	.p2align	6, 0x0
	.amdhsa_kernel _Z21device_test_warp_maskILj53EEvP10TestStatus
		.amdhsa_group_segment_fixed_size 0
		.amdhsa_private_segment_fixed_size 0
		.amdhsa_kernarg_size 8
		.amdhsa_user_sgpr_count 15
		.amdhsa_user_sgpr_dispatch_ptr 0
		.amdhsa_user_sgpr_queue_ptr 0
		.amdhsa_user_sgpr_kernarg_segment_ptr 1
		.amdhsa_user_sgpr_dispatch_id 0
		.amdhsa_user_sgpr_private_segment_size 0
		.amdhsa_wavefront_size32 1
		.amdhsa_uses_dynamic_stack 0
		.amdhsa_enable_private_segment 0
		.amdhsa_system_sgpr_workgroup_id_x 1
		.amdhsa_system_sgpr_workgroup_id_y 0
		.amdhsa_system_sgpr_workgroup_id_z 0
		.amdhsa_system_sgpr_workgroup_info 0
		.amdhsa_system_vgpr_workitem_id 0
		.amdhsa_next_free_vgpr 2
		.amdhsa_next_free_sgpr 2
		.amdhsa_reserve_vcc 0
		.amdhsa_float_round_mode_32 0
		.amdhsa_float_round_mode_16_64 0
		.amdhsa_float_denorm_mode_32 3
		.amdhsa_float_denorm_mode_16_64 3
		.amdhsa_dx10_clamp 1
		.amdhsa_ieee_mode 1
		.amdhsa_fp16_overflow 0
		.amdhsa_workgroup_processor_mode 1
		.amdhsa_memory_ordered 1
		.amdhsa_forward_progress 0
		.amdhsa_shared_vgpr_count 0
		.amdhsa_exception_fp_ieee_invalid_op 0
		.amdhsa_exception_fp_denorm_src 0
		.amdhsa_exception_fp_ieee_div_zero 0
		.amdhsa_exception_fp_ieee_overflow 0
		.amdhsa_exception_fp_ieee_underflow 0
		.amdhsa_exception_fp_ieee_inexact 0
		.amdhsa_exception_int_div_zero 0
	.end_amdhsa_kernel
	.section	.text._Z21device_test_warp_maskILj53EEvP10TestStatus,"axG",@progbits,_Z21device_test_warp_maskILj53EEvP10TestStatus,comdat
.Lfunc_end102:
	.size	_Z21device_test_warp_maskILj53EEvP10TestStatus, .Lfunc_end102-_Z21device_test_warp_maskILj53EEvP10TestStatus
                                        ; -- End function
	.section	.AMDGPU.csdata,"",@progbits
; Kernel info:
; codeLenInByte = 36
; NumSgprs: 2
; NumVgprs: 2
; ScratchSize: 0
; MemoryBound: 0
; FloatMode: 240
; IeeeMode: 1
; LDSByteSize: 0 bytes/workgroup (compile time only)
; SGPRBlocks: 0
; VGPRBlocks: 0
; NumSGPRsForWavesPerEU: 2
; NumVGPRsForWavesPerEU: 2
; Occupancy: 16
; WaveLimiterHint : 0
; COMPUTE_PGM_RSRC2:SCRATCH_EN: 0
; COMPUTE_PGM_RSRC2:USER_SGPR: 15
; COMPUTE_PGM_RSRC2:TRAP_HANDLER: 0
; COMPUTE_PGM_RSRC2:TGID_X_EN: 1
; COMPUTE_PGM_RSRC2:TGID_Y_EN: 0
; COMPUTE_PGM_RSRC2:TGID_Z_EN: 0
; COMPUTE_PGM_RSRC2:TIDIG_COMP_CNT: 0
	.section	.text._Z21device_test_warp_maskILj54EEvP10TestStatus,"axG",@progbits,_Z21device_test_warp_maskILj54EEvP10TestStatus,comdat
	.protected	_Z21device_test_warp_maskILj54EEvP10TestStatus ; -- Begin function _Z21device_test_warp_maskILj54EEvP10TestStatus
	.globl	_Z21device_test_warp_maskILj54EEvP10TestStatus
	.p2align	8
	.type	_Z21device_test_warp_maskILj54EEvP10TestStatus,@function
_Z21device_test_warp_maskILj54EEvP10TestStatus: ; @_Z21device_test_warp_maskILj54EEvP10TestStatus
; %bb.0:
	s_load_b64 s[0:1], s[0:1], 0x0
	v_mov_b32_e32 v1, 1
	s_waitcnt lgkmcnt(0)
	global_store_b8 v0, v1, s[0:1]
	s_nop 0
	s_sendmsg sendmsg(MSG_DEALLOC_VGPRS)
	s_endpgm
	.section	.rodata,"a",@progbits
	.p2align	6, 0x0
	.amdhsa_kernel _Z21device_test_warp_maskILj54EEvP10TestStatus
		.amdhsa_group_segment_fixed_size 0
		.amdhsa_private_segment_fixed_size 0
		.amdhsa_kernarg_size 8
		.amdhsa_user_sgpr_count 15
		.amdhsa_user_sgpr_dispatch_ptr 0
		.amdhsa_user_sgpr_queue_ptr 0
		.amdhsa_user_sgpr_kernarg_segment_ptr 1
		.amdhsa_user_sgpr_dispatch_id 0
		.amdhsa_user_sgpr_private_segment_size 0
		.amdhsa_wavefront_size32 1
		.amdhsa_uses_dynamic_stack 0
		.amdhsa_enable_private_segment 0
		.amdhsa_system_sgpr_workgroup_id_x 1
		.amdhsa_system_sgpr_workgroup_id_y 0
		.amdhsa_system_sgpr_workgroup_id_z 0
		.amdhsa_system_sgpr_workgroup_info 0
		.amdhsa_system_vgpr_workitem_id 0
		.amdhsa_next_free_vgpr 2
		.amdhsa_next_free_sgpr 2
		.amdhsa_reserve_vcc 0
		.amdhsa_float_round_mode_32 0
		.amdhsa_float_round_mode_16_64 0
		.amdhsa_float_denorm_mode_32 3
		.amdhsa_float_denorm_mode_16_64 3
		.amdhsa_dx10_clamp 1
		.amdhsa_ieee_mode 1
		.amdhsa_fp16_overflow 0
		.amdhsa_workgroup_processor_mode 1
		.amdhsa_memory_ordered 1
		.amdhsa_forward_progress 0
		.amdhsa_shared_vgpr_count 0
		.amdhsa_exception_fp_ieee_invalid_op 0
		.amdhsa_exception_fp_denorm_src 0
		.amdhsa_exception_fp_ieee_div_zero 0
		.amdhsa_exception_fp_ieee_overflow 0
		.amdhsa_exception_fp_ieee_underflow 0
		.amdhsa_exception_fp_ieee_inexact 0
		.amdhsa_exception_int_div_zero 0
	.end_amdhsa_kernel
	.section	.text._Z21device_test_warp_maskILj54EEvP10TestStatus,"axG",@progbits,_Z21device_test_warp_maskILj54EEvP10TestStatus,comdat
.Lfunc_end103:
	.size	_Z21device_test_warp_maskILj54EEvP10TestStatus, .Lfunc_end103-_Z21device_test_warp_maskILj54EEvP10TestStatus
                                        ; -- End function
	.section	.AMDGPU.csdata,"",@progbits
; Kernel info:
; codeLenInByte = 36
; NumSgprs: 2
; NumVgprs: 2
; ScratchSize: 0
; MemoryBound: 0
; FloatMode: 240
; IeeeMode: 1
; LDSByteSize: 0 bytes/workgroup (compile time only)
; SGPRBlocks: 0
; VGPRBlocks: 0
; NumSGPRsForWavesPerEU: 2
; NumVGPRsForWavesPerEU: 2
; Occupancy: 16
; WaveLimiterHint : 0
; COMPUTE_PGM_RSRC2:SCRATCH_EN: 0
; COMPUTE_PGM_RSRC2:USER_SGPR: 15
; COMPUTE_PGM_RSRC2:TRAP_HANDLER: 0
; COMPUTE_PGM_RSRC2:TGID_X_EN: 1
; COMPUTE_PGM_RSRC2:TGID_Y_EN: 0
; COMPUTE_PGM_RSRC2:TGID_Z_EN: 0
; COMPUTE_PGM_RSRC2:TIDIG_COMP_CNT: 0
	.section	.text._Z21device_test_warp_maskILj55EEvP10TestStatus,"axG",@progbits,_Z21device_test_warp_maskILj55EEvP10TestStatus,comdat
	.protected	_Z21device_test_warp_maskILj55EEvP10TestStatus ; -- Begin function _Z21device_test_warp_maskILj55EEvP10TestStatus
	.globl	_Z21device_test_warp_maskILj55EEvP10TestStatus
	.p2align	8
	.type	_Z21device_test_warp_maskILj55EEvP10TestStatus,@function
_Z21device_test_warp_maskILj55EEvP10TestStatus: ; @_Z21device_test_warp_maskILj55EEvP10TestStatus
; %bb.0:
	s_load_b64 s[0:1], s[0:1], 0x0
	v_mov_b32_e32 v1, 1
	s_waitcnt lgkmcnt(0)
	global_store_b8 v0, v1, s[0:1]
	s_nop 0
	s_sendmsg sendmsg(MSG_DEALLOC_VGPRS)
	s_endpgm
	.section	.rodata,"a",@progbits
	.p2align	6, 0x0
	.amdhsa_kernel _Z21device_test_warp_maskILj55EEvP10TestStatus
		.amdhsa_group_segment_fixed_size 0
		.amdhsa_private_segment_fixed_size 0
		.amdhsa_kernarg_size 8
		.amdhsa_user_sgpr_count 15
		.amdhsa_user_sgpr_dispatch_ptr 0
		.amdhsa_user_sgpr_queue_ptr 0
		.amdhsa_user_sgpr_kernarg_segment_ptr 1
		.amdhsa_user_sgpr_dispatch_id 0
		.amdhsa_user_sgpr_private_segment_size 0
		.amdhsa_wavefront_size32 1
		.amdhsa_uses_dynamic_stack 0
		.amdhsa_enable_private_segment 0
		.amdhsa_system_sgpr_workgroup_id_x 1
		.amdhsa_system_sgpr_workgroup_id_y 0
		.amdhsa_system_sgpr_workgroup_id_z 0
		.amdhsa_system_sgpr_workgroup_info 0
		.amdhsa_system_vgpr_workitem_id 0
		.amdhsa_next_free_vgpr 2
		.amdhsa_next_free_sgpr 2
		.amdhsa_reserve_vcc 0
		.amdhsa_float_round_mode_32 0
		.amdhsa_float_round_mode_16_64 0
		.amdhsa_float_denorm_mode_32 3
		.amdhsa_float_denorm_mode_16_64 3
		.amdhsa_dx10_clamp 1
		.amdhsa_ieee_mode 1
		.amdhsa_fp16_overflow 0
		.amdhsa_workgroup_processor_mode 1
		.amdhsa_memory_ordered 1
		.amdhsa_forward_progress 0
		.amdhsa_shared_vgpr_count 0
		.amdhsa_exception_fp_ieee_invalid_op 0
		.amdhsa_exception_fp_denorm_src 0
		.amdhsa_exception_fp_ieee_div_zero 0
		.amdhsa_exception_fp_ieee_overflow 0
		.amdhsa_exception_fp_ieee_underflow 0
		.amdhsa_exception_fp_ieee_inexact 0
		.amdhsa_exception_int_div_zero 0
	.end_amdhsa_kernel
	.section	.text._Z21device_test_warp_maskILj55EEvP10TestStatus,"axG",@progbits,_Z21device_test_warp_maskILj55EEvP10TestStatus,comdat
.Lfunc_end104:
	.size	_Z21device_test_warp_maskILj55EEvP10TestStatus, .Lfunc_end104-_Z21device_test_warp_maskILj55EEvP10TestStatus
                                        ; -- End function
	.section	.AMDGPU.csdata,"",@progbits
; Kernel info:
; codeLenInByte = 36
; NumSgprs: 2
; NumVgprs: 2
; ScratchSize: 0
; MemoryBound: 0
; FloatMode: 240
; IeeeMode: 1
; LDSByteSize: 0 bytes/workgroup (compile time only)
; SGPRBlocks: 0
; VGPRBlocks: 0
; NumSGPRsForWavesPerEU: 2
; NumVGPRsForWavesPerEU: 2
; Occupancy: 16
; WaveLimiterHint : 0
; COMPUTE_PGM_RSRC2:SCRATCH_EN: 0
; COMPUTE_PGM_RSRC2:USER_SGPR: 15
; COMPUTE_PGM_RSRC2:TRAP_HANDLER: 0
; COMPUTE_PGM_RSRC2:TGID_X_EN: 1
; COMPUTE_PGM_RSRC2:TGID_Y_EN: 0
; COMPUTE_PGM_RSRC2:TGID_Z_EN: 0
; COMPUTE_PGM_RSRC2:TIDIG_COMP_CNT: 0
	.section	.text._Z21device_test_warp_maskILj56EEvP10TestStatus,"axG",@progbits,_Z21device_test_warp_maskILj56EEvP10TestStatus,comdat
	.protected	_Z21device_test_warp_maskILj56EEvP10TestStatus ; -- Begin function _Z21device_test_warp_maskILj56EEvP10TestStatus
	.globl	_Z21device_test_warp_maskILj56EEvP10TestStatus
	.p2align	8
	.type	_Z21device_test_warp_maskILj56EEvP10TestStatus,@function
_Z21device_test_warp_maskILj56EEvP10TestStatus: ; @_Z21device_test_warp_maskILj56EEvP10TestStatus
; %bb.0:
	s_load_b64 s[0:1], s[0:1], 0x0
	v_mov_b32_e32 v1, 1
	s_waitcnt lgkmcnt(0)
	global_store_b8 v0, v1, s[0:1]
	s_nop 0
	s_sendmsg sendmsg(MSG_DEALLOC_VGPRS)
	s_endpgm
	.section	.rodata,"a",@progbits
	.p2align	6, 0x0
	.amdhsa_kernel _Z21device_test_warp_maskILj56EEvP10TestStatus
		.amdhsa_group_segment_fixed_size 0
		.amdhsa_private_segment_fixed_size 0
		.amdhsa_kernarg_size 8
		.amdhsa_user_sgpr_count 15
		.amdhsa_user_sgpr_dispatch_ptr 0
		.amdhsa_user_sgpr_queue_ptr 0
		.amdhsa_user_sgpr_kernarg_segment_ptr 1
		.amdhsa_user_sgpr_dispatch_id 0
		.amdhsa_user_sgpr_private_segment_size 0
		.amdhsa_wavefront_size32 1
		.amdhsa_uses_dynamic_stack 0
		.amdhsa_enable_private_segment 0
		.amdhsa_system_sgpr_workgroup_id_x 1
		.amdhsa_system_sgpr_workgroup_id_y 0
		.amdhsa_system_sgpr_workgroup_id_z 0
		.amdhsa_system_sgpr_workgroup_info 0
		.amdhsa_system_vgpr_workitem_id 0
		.amdhsa_next_free_vgpr 2
		.amdhsa_next_free_sgpr 2
		.amdhsa_reserve_vcc 0
		.amdhsa_float_round_mode_32 0
		.amdhsa_float_round_mode_16_64 0
		.amdhsa_float_denorm_mode_32 3
		.amdhsa_float_denorm_mode_16_64 3
		.amdhsa_dx10_clamp 1
		.amdhsa_ieee_mode 1
		.amdhsa_fp16_overflow 0
		.amdhsa_workgroup_processor_mode 1
		.amdhsa_memory_ordered 1
		.amdhsa_forward_progress 0
		.amdhsa_shared_vgpr_count 0
		.amdhsa_exception_fp_ieee_invalid_op 0
		.amdhsa_exception_fp_denorm_src 0
		.amdhsa_exception_fp_ieee_div_zero 0
		.amdhsa_exception_fp_ieee_overflow 0
		.amdhsa_exception_fp_ieee_underflow 0
		.amdhsa_exception_fp_ieee_inexact 0
		.amdhsa_exception_int_div_zero 0
	.end_amdhsa_kernel
	.section	.text._Z21device_test_warp_maskILj56EEvP10TestStatus,"axG",@progbits,_Z21device_test_warp_maskILj56EEvP10TestStatus,comdat
.Lfunc_end105:
	.size	_Z21device_test_warp_maskILj56EEvP10TestStatus, .Lfunc_end105-_Z21device_test_warp_maskILj56EEvP10TestStatus
                                        ; -- End function
	.section	.AMDGPU.csdata,"",@progbits
; Kernel info:
; codeLenInByte = 36
; NumSgprs: 2
; NumVgprs: 2
; ScratchSize: 0
; MemoryBound: 0
; FloatMode: 240
; IeeeMode: 1
; LDSByteSize: 0 bytes/workgroup (compile time only)
; SGPRBlocks: 0
; VGPRBlocks: 0
; NumSGPRsForWavesPerEU: 2
; NumVGPRsForWavesPerEU: 2
; Occupancy: 16
; WaveLimiterHint : 0
; COMPUTE_PGM_RSRC2:SCRATCH_EN: 0
; COMPUTE_PGM_RSRC2:USER_SGPR: 15
; COMPUTE_PGM_RSRC2:TRAP_HANDLER: 0
; COMPUTE_PGM_RSRC2:TGID_X_EN: 1
; COMPUTE_PGM_RSRC2:TGID_Y_EN: 0
; COMPUTE_PGM_RSRC2:TGID_Z_EN: 0
; COMPUTE_PGM_RSRC2:TIDIG_COMP_CNT: 0
	.section	.text._Z21device_test_warp_maskILj57EEvP10TestStatus,"axG",@progbits,_Z21device_test_warp_maskILj57EEvP10TestStatus,comdat
	.protected	_Z21device_test_warp_maskILj57EEvP10TestStatus ; -- Begin function _Z21device_test_warp_maskILj57EEvP10TestStatus
	.globl	_Z21device_test_warp_maskILj57EEvP10TestStatus
	.p2align	8
	.type	_Z21device_test_warp_maskILj57EEvP10TestStatus,@function
_Z21device_test_warp_maskILj57EEvP10TestStatus: ; @_Z21device_test_warp_maskILj57EEvP10TestStatus
; %bb.0:
	s_load_b64 s[0:1], s[0:1], 0x0
	v_mov_b32_e32 v1, 1
	s_waitcnt lgkmcnt(0)
	global_store_b8 v0, v1, s[0:1]
	s_nop 0
	s_sendmsg sendmsg(MSG_DEALLOC_VGPRS)
	s_endpgm
	.section	.rodata,"a",@progbits
	.p2align	6, 0x0
	.amdhsa_kernel _Z21device_test_warp_maskILj57EEvP10TestStatus
		.amdhsa_group_segment_fixed_size 0
		.amdhsa_private_segment_fixed_size 0
		.amdhsa_kernarg_size 8
		.amdhsa_user_sgpr_count 15
		.amdhsa_user_sgpr_dispatch_ptr 0
		.amdhsa_user_sgpr_queue_ptr 0
		.amdhsa_user_sgpr_kernarg_segment_ptr 1
		.amdhsa_user_sgpr_dispatch_id 0
		.amdhsa_user_sgpr_private_segment_size 0
		.amdhsa_wavefront_size32 1
		.amdhsa_uses_dynamic_stack 0
		.amdhsa_enable_private_segment 0
		.amdhsa_system_sgpr_workgroup_id_x 1
		.amdhsa_system_sgpr_workgroup_id_y 0
		.amdhsa_system_sgpr_workgroup_id_z 0
		.amdhsa_system_sgpr_workgroup_info 0
		.amdhsa_system_vgpr_workitem_id 0
		.amdhsa_next_free_vgpr 2
		.amdhsa_next_free_sgpr 2
		.amdhsa_reserve_vcc 0
		.amdhsa_float_round_mode_32 0
		.amdhsa_float_round_mode_16_64 0
		.amdhsa_float_denorm_mode_32 3
		.amdhsa_float_denorm_mode_16_64 3
		.amdhsa_dx10_clamp 1
		.amdhsa_ieee_mode 1
		.amdhsa_fp16_overflow 0
		.amdhsa_workgroup_processor_mode 1
		.amdhsa_memory_ordered 1
		.amdhsa_forward_progress 0
		.amdhsa_shared_vgpr_count 0
		.amdhsa_exception_fp_ieee_invalid_op 0
		.amdhsa_exception_fp_denorm_src 0
		.amdhsa_exception_fp_ieee_div_zero 0
		.amdhsa_exception_fp_ieee_overflow 0
		.amdhsa_exception_fp_ieee_underflow 0
		.amdhsa_exception_fp_ieee_inexact 0
		.amdhsa_exception_int_div_zero 0
	.end_amdhsa_kernel
	.section	.text._Z21device_test_warp_maskILj57EEvP10TestStatus,"axG",@progbits,_Z21device_test_warp_maskILj57EEvP10TestStatus,comdat
.Lfunc_end106:
	.size	_Z21device_test_warp_maskILj57EEvP10TestStatus, .Lfunc_end106-_Z21device_test_warp_maskILj57EEvP10TestStatus
                                        ; -- End function
	.section	.AMDGPU.csdata,"",@progbits
; Kernel info:
; codeLenInByte = 36
; NumSgprs: 2
; NumVgprs: 2
; ScratchSize: 0
; MemoryBound: 0
; FloatMode: 240
; IeeeMode: 1
; LDSByteSize: 0 bytes/workgroup (compile time only)
; SGPRBlocks: 0
; VGPRBlocks: 0
; NumSGPRsForWavesPerEU: 2
; NumVGPRsForWavesPerEU: 2
; Occupancy: 16
; WaveLimiterHint : 0
; COMPUTE_PGM_RSRC2:SCRATCH_EN: 0
; COMPUTE_PGM_RSRC2:USER_SGPR: 15
; COMPUTE_PGM_RSRC2:TRAP_HANDLER: 0
; COMPUTE_PGM_RSRC2:TGID_X_EN: 1
; COMPUTE_PGM_RSRC2:TGID_Y_EN: 0
; COMPUTE_PGM_RSRC2:TGID_Z_EN: 0
; COMPUTE_PGM_RSRC2:TIDIG_COMP_CNT: 0
	.section	.text._Z21device_test_warp_maskILj58EEvP10TestStatus,"axG",@progbits,_Z21device_test_warp_maskILj58EEvP10TestStatus,comdat
	.protected	_Z21device_test_warp_maskILj58EEvP10TestStatus ; -- Begin function _Z21device_test_warp_maskILj58EEvP10TestStatus
	.globl	_Z21device_test_warp_maskILj58EEvP10TestStatus
	.p2align	8
	.type	_Z21device_test_warp_maskILj58EEvP10TestStatus,@function
_Z21device_test_warp_maskILj58EEvP10TestStatus: ; @_Z21device_test_warp_maskILj58EEvP10TestStatus
; %bb.0:
	s_load_b64 s[0:1], s[0:1], 0x0
	v_mov_b32_e32 v1, 1
	s_waitcnt lgkmcnt(0)
	global_store_b8 v0, v1, s[0:1]
	s_nop 0
	s_sendmsg sendmsg(MSG_DEALLOC_VGPRS)
	s_endpgm
	.section	.rodata,"a",@progbits
	.p2align	6, 0x0
	.amdhsa_kernel _Z21device_test_warp_maskILj58EEvP10TestStatus
		.amdhsa_group_segment_fixed_size 0
		.amdhsa_private_segment_fixed_size 0
		.amdhsa_kernarg_size 8
		.amdhsa_user_sgpr_count 15
		.amdhsa_user_sgpr_dispatch_ptr 0
		.amdhsa_user_sgpr_queue_ptr 0
		.amdhsa_user_sgpr_kernarg_segment_ptr 1
		.amdhsa_user_sgpr_dispatch_id 0
		.amdhsa_user_sgpr_private_segment_size 0
		.amdhsa_wavefront_size32 1
		.amdhsa_uses_dynamic_stack 0
		.amdhsa_enable_private_segment 0
		.amdhsa_system_sgpr_workgroup_id_x 1
		.amdhsa_system_sgpr_workgroup_id_y 0
		.amdhsa_system_sgpr_workgroup_id_z 0
		.amdhsa_system_sgpr_workgroup_info 0
		.amdhsa_system_vgpr_workitem_id 0
		.amdhsa_next_free_vgpr 2
		.amdhsa_next_free_sgpr 2
		.amdhsa_reserve_vcc 0
		.amdhsa_float_round_mode_32 0
		.amdhsa_float_round_mode_16_64 0
		.amdhsa_float_denorm_mode_32 3
		.amdhsa_float_denorm_mode_16_64 3
		.amdhsa_dx10_clamp 1
		.amdhsa_ieee_mode 1
		.amdhsa_fp16_overflow 0
		.amdhsa_workgroup_processor_mode 1
		.amdhsa_memory_ordered 1
		.amdhsa_forward_progress 0
		.amdhsa_shared_vgpr_count 0
		.amdhsa_exception_fp_ieee_invalid_op 0
		.amdhsa_exception_fp_denorm_src 0
		.amdhsa_exception_fp_ieee_div_zero 0
		.amdhsa_exception_fp_ieee_overflow 0
		.amdhsa_exception_fp_ieee_underflow 0
		.amdhsa_exception_fp_ieee_inexact 0
		.amdhsa_exception_int_div_zero 0
	.end_amdhsa_kernel
	.section	.text._Z21device_test_warp_maskILj58EEvP10TestStatus,"axG",@progbits,_Z21device_test_warp_maskILj58EEvP10TestStatus,comdat
.Lfunc_end107:
	.size	_Z21device_test_warp_maskILj58EEvP10TestStatus, .Lfunc_end107-_Z21device_test_warp_maskILj58EEvP10TestStatus
                                        ; -- End function
	.section	.AMDGPU.csdata,"",@progbits
; Kernel info:
; codeLenInByte = 36
; NumSgprs: 2
; NumVgprs: 2
; ScratchSize: 0
; MemoryBound: 0
; FloatMode: 240
; IeeeMode: 1
; LDSByteSize: 0 bytes/workgroup (compile time only)
; SGPRBlocks: 0
; VGPRBlocks: 0
; NumSGPRsForWavesPerEU: 2
; NumVGPRsForWavesPerEU: 2
; Occupancy: 16
; WaveLimiterHint : 0
; COMPUTE_PGM_RSRC2:SCRATCH_EN: 0
; COMPUTE_PGM_RSRC2:USER_SGPR: 15
; COMPUTE_PGM_RSRC2:TRAP_HANDLER: 0
; COMPUTE_PGM_RSRC2:TGID_X_EN: 1
; COMPUTE_PGM_RSRC2:TGID_Y_EN: 0
; COMPUTE_PGM_RSRC2:TGID_Z_EN: 0
; COMPUTE_PGM_RSRC2:TIDIG_COMP_CNT: 0
	.section	.text._Z21device_test_warp_maskILj59EEvP10TestStatus,"axG",@progbits,_Z21device_test_warp_maskILj59EEvP10TestStatus,comdat
	.protected	_Z21device_test_warp_maskILj59EEvP10TestStatus ; -- Begin function _Z21device_test_warp_maskILj59EEvP10TestStatus
	.globl	_Z21device_test_warp_maskILj59EEvP10TestStatus
	.p2align	8
	.type	_Z21device_test_warp_maskILj59EEvP10TestStatus,@function
_Z21device_test_warp_maskILj59EEvP10TestStatus: ; @_Z21device_test_warp_maskILj59EEvP10TestStatus
; %bb.0:
	s_load_b64 s[0:1], s[0:1], 0x0
	v_mov_b32_e32 v1, 1
	s_waitcnt lgkmcnt(0)
	global_store_b8 v0, v1, s[0:1]
	s_nop 0
	s_sendmsg sendmsg(MSG_DEALLOC_VGPRS)
	s_endpgm
	.section	.rodata,"a",@progbits
	.p2align	6, 0x0
	.amdhsa_kernel _Z21device_test_warp_maskILj59EEvP10TestStatus
		.amdhsa_group_segment_fixed_size 0
		.amdhsa_private_segment_fixed_size 0
		.amdhsa_kernarg_size 8
		.amdhsa_user_sgpr_count 15
		.amdhsa_user_sgpr_dispatch_ptr 0
		.amdhsa_user_sgpr_queue_ptr 0
		.amdhsa_user_sgpr_kernarg_segment_ptr 1
		.amdhsa_user_sgpr_dispatch_id 0
		.amdhsa_user_sgpr_private_segment_size 0
		.amdhsa_wavefront_size32 1
		.amdhsa_uses_dynamic_stack 0
		.amdhsa_enable_private_segment 0
		.amdhsa_system_sgpr_workgroup_id_x 1
		.amdhsa_system_sgpr_workgroup_id_y 0
		.amdhsa_system_sgpr_workgroup_id_z 0
		.amdhsa_system_sgpr_workgroup_info 0
		.amdhsa_system_vgpr_workitem_id 0
		.amdhsa_next_free_vgpr 2
		.amdhsa_next_free_sgpr 2
		.amdhsa_reserve_vcc 0
		.amdhsa_float_round_mode_32 0
		.amdhsa_float_round_mode_16_64 0
		.amdhsa_float_denorm_mode_32 3
		.amdhsa_float_denorm_mode_16_64 3
		.amdhsa_dx10_clamp 1
		.amdhsa_ieee_mode 1
		.amdhsa_fp16_overflow 0
		.amdhsa_workgroup_processor_mode 1
		.amdhsa_memory_ordered 1
		.amdhsa_forward_progress 0
		.amdhsa_shared_vgpr_count 0
		.amdhsa_exception_fp_ieee_invalid_op 0
		.amdhsa_exception_fp_denorm_src 0
		.amdhsa_exception_fp_ieee_div_zero 0
		.amdhsa_exception_fp_ieee_overflow 0
		.amdhsa_exception_fp_ieee_underflow 0
		.amdhsa_exception_fp_ieee_inexact 0
		.amdhsa_exception_int_div_zero 0
	.end_amdhsa_kernel
	.section	.text._Z21device_test_warp_maskILj59EEvP10TestStatus,"axG",@progbits,_Z21device_test_warp_maskILj59EEvP10TestStatus,comdat
.Lfunc_end108:
	.size	_Z21device_test_warp_maskILj59EEvP10TestStatus, .Lfunc_end108-_Z21device_test_warp_maskILj59EEvP10TestStatus
                                        ; -- End function
	.section	.AMDGPU.csdata,"",@progbits
; Kernel info:
; codeLenInByte = 36
; NumSgprs: 2
; NumVgprs: 2
; ScratchSize: 0
; MemoryBound: 0
; FloatMode: 240
; IeeeMode: 1
; LDSByteSize: 0 bytes/workgroup (compile time only)
; SGPRBlocks: 0
; VGPRBlocks: 0
; NumSGPRsForWavesPerEU: 2
; NumVGPRsForWavesPerEU: 2
; Occupancy: 16
; WaveLimiterHint : 0
; COMPUTE_PGM_RSRC2:SCRATCH_EN: 0
; COMPUTE_PGM_RSRC2:USER_SGPR: 15
; COMPUTE_PGM_RSRC2:TRAP_HANDLER: 0
; COMPUTE_PGM_RSRC2:TGID_X_EN: 1
; COMPUTE_PGM_RSRC2:TGID_Y_EN: 0
; COMPUTE_PGM_RSRC2:TGID_Z_EN: 0
; COMPUTE_PGM_RSRC2:TIDIG_COMP_CNT: 0
	.section	.text._Z21device_test_warp_maskILj60EEvP10TestStatus,"axG",@progbits,_Z21device_test_warp_maskILj60EEvP10TestStatus,comdat
	.protected	_Z21device_test_warp_maskILj60EEvP10TestStatus ; -- Begin function _Z21device_test_warp_maskILj60EEvP10TestStatus
	.globl	_Z21device_test_warp_maskILj60EEvP10TestStatus
	.p2align	8
	.type	_Z21device_test_warp_maskILj60EEvP10TestStatus,@function
_Z21device_test_warp_maskILj60EEvP10TestStatus: ; @_Z21device_test_warp_maskILj60EEvP10TestStatus
; %bb.0:
	s_load_b64 s[0:1], s[0:1], 0x0
	v_mov_b32_e32 v1, 1
	s_waitcnt lgkmcnt(0)
	global_store_b8 v0, v1, s[0:1]
	s_nop 0
	s_sendmsg sendmsg(MSG_DEALLOC_VGPRS)
	s_endpgm
	.section	.rodata,"a",@progbits
	.p2align	6, 0x0
	.amdhsa_kernel _Z21device_test_warp_maskILj60EEvP10TestStatus
		.amdhsa_group_segment_fixed_size 0
		.amdhsa_private_segment_fixed_size 0
		.amdhsa_kernarg_size 8
		.amdhsa_user_sgpr_count 15
		.amdhsa_user_sgpr_dispatch_ptr 0
		.amdhsa_user_sgpr_queue_ptr 0
		.amdhsa_user_sgpr_kernarg_segment_ptr 1
		.amdhsa_user_sgpr_dispatch_id 0
		.amdhsa_user_sgpr_private_segment_size 0
		.amdhsa_wavefront_size32 1
		.amdhsa_uses_dynamic_stack 0
		.amdhsa_enable_private_segment 0
		.amdhsa_system_sgpr_workgroup_id_x 1
		.amdhsa_system_sgpr_workgroup_id_y 0
		.amdhsa_system_sgpr_workgroup_id_z 0
		.amdhsa_system_sgpr_workgroup_info 0
		.amdhsa_system_vgpr_workitem_id 0
		.amdhsa_next_free_vgpr 2
		.amdhsa_next_free_sgpr 2
		.amdhsa_reserve_vcc 0
		.amdhsa_float_round_mode_32 0
		.amdhsa_float_round_mode_16_64 0
		.amdhsa_float_denorm_mode_32 3
		.amdhsa_float_denorm_mode_16_64 3
		.amdhsa_dx10_clamp 1
		.amdhsa_ieee_mode 1
		.amdhsa_fp16_overflow 0
		.amdhsa_workgroup_processor_mode 1
		.amdhsa_memory_ordered 1
		.amdhsa_forward_progress 0
		.amdhsa_shared_vgpr_count 0
		.amdhsa_exception_fp_ieee_invalid_op 0
		.amdhsa_exception_fp_denorm_src 0
		.amdhsa_exception_fp_ieee_div_zero 0
		.amdhsa_exception_fp_ieee_overflow 0
		.amdhsa_exception_fp_ieee_underflow 0
		.amdhsa_exception_fp_ieee_inexact 0
		.amdhsa_exception_int_div_zero 0
	.end_amdhsa_kernel
	.section	.text._Z21device_test_warp_maskILj60EEvP10TestStatus,"axG",@progbits,_Z21device_test_warp_maskILj60EEvP10TestStatus,comdat
.Lfunc_end109:
	.size	_Z21device_test_warp_maskILj60EEvP10TestStatus, .Lfunc_end109-_Z21device_test_warp_maskILj60EEvP10TestStatus
                                        ; -- End function
	.section	.AMDGPU.csdata,"",@progbits
; Kernel info:
; codeLenInByte = 36
; NumSgprs: 2
; NumVgprs: 2
; ScratchSize: 0
; MemoryBound: 0
; FloatMode: 240
; IeeeMode: 1
; LDSByteSize: 0 bytes/workgroup (compile time only)
; SGPRBlocks: 0
; VGPRBlocks: 0
; NumSGPRsForWavesPerEU: 2
; NumVGPRsForWavesPerEU: 2
; Occupancy: 16
; WaveLimiterHint : 0
; COMPUTE_PGM_RSRC2:SCRATCH_EN: 0
; COMPUTE_PGM_RSRC2:USER_SGPR: 15
; COMPUTE_PGM_RSRC2:TRAP_HANDLER: 0
; COMPUTE_PGM_RSRC2:TGID_X_EN: 1
; COMPUTE_PGM_RSRC2:TGID_Y_EN: 0
; COMPUTE_PGM_RSRC2:TGID_Z_EN: 0
; COMPUTE_PGM_RSRC2:TIDIG_COMP_CNT: 0
	.section	.text._Z21device_test_warp_maskILj61EEvP10TestStatus,"axG",@progbits,_Z21device_test_warp_maskILj61EEvP10TestStatus,comdat
	.protected	_Z21device_test_warp_maskILj61EEvP10TestStatus ; -- Begin function _Z21device_test_warp_maskILj61EEvP10TestStatus
	.globl	_Z21device_test_warp_maskILj61EEvP10TestStatus
	.p2align	8
	.type	_Z21device_test_warp_maskILj61EEvP10TestStatus,@function
_Z21device_test_warp_maskILj61EEvP10TestStatus: ; @_Z21device_test_warp_maskILj61EEvP10TestStatus
; %bb.0:
	s_load_b64 s[0:1], s[0:1], 0x0
	v_mov_b32_e32 v1, 1
	s_waitcnt lgkmcnt(0)
	global_store_b8 v0, v1, s[0:1]
	s_nop 0
	s_sendmsg sendmsg(MSG_DEALLOC_VGPRS)
	s_endpgm
	.section	.rodata,"a",@progbits
	.p2align	6, 0x0
	.amdhsa_kernel _Z21device_test_warp_maskILj61EEvP10TestStatus
		.amdhsa_group_segment_fixed_size 0
		.amdhsa_private_segment_fixed_size 0
		.amdhsa_kernarg_size 8
		.amdhsa_user_sgpr_count 15
		.amdhsa_user_sgpr_dispatch_ptr 0
		.amdhsa_user_sgpr_queue_ptr 0
		.amdhsa_user_sgpr_kernarg_segment_ptr 1
		.amdhsa_user_sgpr_dispatch_id 0
		.amdhsa_user_sgpr_private_segment_size 0
		.amdhsa_wavefront_size32 1
		.amdhsa_uses_dynamic_stack 0
		.amdhsa_enable_private_segment 0
		.amdhsa_system_sgpr_workgroup_id_x 1
		.amdhsa_system_sgpr_workgroup_id_y 0
		.amdhsa_system_sgpr_workgroup_id_z 0
		.amdhsa_system_sgpr_workgroup_info 0
		.amdhsa_system_vgpr_workitem_id 0
		.amdhsa_next_free_vgpr 2
		.amdhsa_next_free_sgpr 2
		.amdhsa_reserve_vcc 0
		.amdhsa_float_round_mode_32 0
		.amdhsa_float_round_mode_16_64 0
		.amdhsa_float_denorm_mode_32 3
		.amdhsa_float_denorm_mode_16_64 3
		.amdhsa_dx10_clamp 1
		.amdhsa_ieee_mode 1
		.amdhsa_fp16_overflow 0
		.amdhsa_workgroup_processor_mode 1
		.amdhsa_memory_ordered 1
		.amdhsa_forward_progress 0
		.amdhsa_shared_vgpr_count 0
		.amdhsa_exception_fp_ieee_invalid_op 0
		.amdhsa_exception_fp_denorm_src 0
		.amdhsa_exception_fp_ieee_div_zero 0
		.amdhsa_exception_fp_ieee_overflow 0
		.amdhsa_exception_fp_ieee_underflow 0
		.amdhsa_exception_fp_ieee_inexact 0
		.amdhsa_exception_int_div_zero 0
	.end_amdhsa_kernel
	.section	.text._Z21device_test_warp_maskILj61EEvP10TestStatus,"axG",@progbits,_Z21device_test_warp_maskILj61EEvP10TestStatus,comdat
.Lfunc_end110:
	.size	_Z21device_test_warp_maskILj61EEvP10TestStatus, .Lfunc_end110-_Z21device_test_warp_maskILj61EEvP10TestStatus
                                        ; -- End function
	.section	.AMDGPU.csdata,"",@progbits
; Kernel info:
; codeLenInByte = 36
; NumSgprs: 2
; NumVgprs: 2
; ScratchSize: 0
; MemoryBound: 0
; FloatMode: 240
; IeeeMode: 1
; LDSByteSize: 0 bytes/workgroup (compile time only)
; SGPRBlocks: 0
; VGPRBlocks: 0
; NumSGPRsForWavesPerEU: 2
; NumVGPRsForWavesPerEU: 2
; Occupancy: 16
; WaveLimiterHint : 0
; COMPUTE_PGM_RSRC2:SCRATCH_EN: 0
; COMPUTE_PGM_RSRC2:USER_SGPR: 15
; COMPUTE_PGM_RSRC2:TRAP_HANDLER: 0
; COMPUTE_PGM_RSRC2:TGID_X_EN: 1
; COMPUTE_PGM_RSRC2:TGID_Y_EN: 0
; COMPUTE_PGM_RSRC2:TGID_Z_EN: 0
; COMPUTE_PGM_RSRC2:TIDIG_COMP_CNT: 0
	.section	.text._Z21device_test_warp_maskILj62EEvP10TestStatus,"axG",@progbits,_Z21device_test_warp_maskILj62EEvP10TestStatus,comdat
	.protected	_Z21device_test_warp_maskILj62EEvP10TestStatus ; -- Begin function _Z21device_test_warp_maskILj62EEvP10TestStatus
	.globl	_Z21device_test_warp_maskILj62EEvP10TestStatus
	.p2align	8
	.type	_Z21device_test_warp_maskILj62EEvP10TestStatus,@function
_Z21device_test_warp_maskILj62EEvP10TestStatus: ; @_Z21device_test_warp_maskILj62EEvP10TestStatus
; %bb.0:
	s_load_b64 s[0:1], s[0:1], 0x0
	v_mov_b32_e32 v1, 1
	s_waitcnt lgkmcnt(0)
	global_store_b8 v0, v1, s[0:1]
	s_nop 0
	s_sendmsg sendmsg(MSG_DEALLOC_VGPRS)
	s_endpgm
	.section	.rodata,"a",@progbits
	.p2align	6, 0x0
	.amdhsa_kernel _Z21device_test_warp_maskILj62EEvP10TestStatus
		.amdhsa_group_segment_fixed_size 0
		.amdhsa_private_segment_fixed_size 0
		.amdhsa_kernarg_size 8
		.amdhsa_user_sgpr_count 15
		.amdhsa_user_sgpr_dispatch_ptr 0
		.amdhsa_user_sgpr_queue_ptr 0
		.amdhsa_user_sgpr_kernarg_segment_ptr 1
		.amdhsa_user_sgpr_dispatch_id 0
		.amdhsa_user_sgpr_private_segment_size 0
		.amdhsa_wavefront_size32 1
		.amdhsa_uses_dynamic_stack 0
		.amdhsa_enable_private_segment 0
		.amdhsa_system_sgpr_workgroup_id_x 1
		.amdhsa_system_sgpr_workgroup_id_y 0
		.amdhsa_system_sgpr_workgroup_id_z 0
		.amdhsa_system_sgpr_workgroup_info 0
		.amdhsa_system_vgpr_workitem_id 0
		.amdhsa_next_free_vgpr 2
		.amdhsa_next_free_sgpr 2
		.amdhsa_reserve_vcc 0
		.amdhsa_float_round_mode_32 0
		.amdhsa_float_round_mode_16_64 0
		.amdhsa_float_denorm_mode_32 3
		.amdhsa_float_denorm_mode_16_64 3
		.amdhsa_dx10_clamp 1
		.amdhsa_ieee_mode 1
		.amdhsa_fp16_overflow 0
		.amdhsa_workgroup_processor_mode 1
		.amdhsa_memory_ordered 1
		.amdhsa_forward_progress 0
		.amdhsa_shared_vgpr_count 0
		.amdhsa_exception_fp_ieee_invalid_op 0
		.amdhsa_exception_fp_denorm_src 0
		.amdhsa_exception_fp_ieee_div_zero 0
		.amdhsa_exception_fp_ieee_overflow 0
		.amdhsa_exception_fp_ieee_underflow 0
		.amdhsa_exception_fp_ieee_inexact 0
		.amdhsa_exception_int_div_zero 0
	.end_amdhsa_kernel
	.section	.text._Z21device_test_warp_maskILj62EEvP10TestStatus,"axG",@progbits,_Z21device_test_warp_maskILj62EEvP10TestStatus,comdat
.Lfunc_end111:
	.size	_Z21device_test_warp_maskILj62EEvP10TestStatus, .Lfunc_end111-_Z21device_test_warp_maskILj62EEvP10TestStatus
                                        ; -- End function
	.section	.AMDGPU.csdata,"",@progbits
; Kernel info:
; codeLenInByte = 36
; NumSgprs: 2
; NumVgprs: 2
; ScratchSize: 0
; MemoryBound: 0
; FloatMode: 240
; IeeeMode: 1
; LDSByteSize: 0 bytes/workgroup (compile time only)
; SGPRBlocks: 0
; VGPRBlocks: 0
; NumSGPRsForWavesPerEU: 2
; NumVGPRsForWavesPerEU: 2
; Occupancy: 16
; WaveLimiterHint : 0
; COMPUTE_PGM_RSRC2:SCRATCH_EN: 0
; COMPUTE_PGM_RSRC2:USER_SGPR: 15
; COMPUTE_PGM_RSRC2:TRAP_HANDLER: 0
; COMPUTE_PGM_RSRC2:TGID_X_EN: 1
; COMPUTE_PGM_RSRC2:TGID_Y_EN: 0
; COMPUTE_PGM_RSRC2:TGID_Z_EN: 0
; COMPUTE_PGM_RSRC2:TIDIG_COMP_CNT: 0
	.section	.text._Z21device_test_warp_maskILj63EEvP10TestStatus,"axG",@progbits,_Z21device_test_warp_maskILj63EEvP10TestStatus,comdat
	.protected	_Z21device_test_warp_maskILj63EEvP10TestStatus ; -- Begin function _Z21device_test_warp_maskILj63EEvP10TestStatus
	.globl	_Z21device_test_warp_maskILj63EEvP10TestStatus
	.p2align	8
	.type	_Z21device_test_warp_maskILj63EEvP10TestStatus,@function
_Z21device_test_warp_maskILj63EEvP10TestStatus: ; @_Z21device_test_warp_maskILj63EEvP10TestStatus
; %bb.0:
	s_load_b64 s[0:1], s[0:1], 0x0
	v_mov_b32_e32 v1, 1
	s_waitcnt lgkmcnt(0)
	global_store_b8 v0, v1, s[0:1]
	s_nop 0
	s_sendmsg sendmsg(MSG_DEALLOC_VGPRS)
	s_endpgm
	.section	.rodata,"a",@progbits
	.p2align	6, 0x0
	.amdhsa_kernel _Z21device_test_warp_maskILj63EEvP10TestStatus
		.amdhsa_group_segment_fixed_size 0
		.amdhsa_private_segment_fixed_size 0
		.amdhsa_kernarg_size 8
		.amdhsa_user_sgpr_count 15
		.amdhsa_user_sgpr_dispatch_ptr 0
		.amdhsa_user_sgpr_queue_ptr 0
		.amdhsa_user_sgpr_kernarg_segment_ptr 1
		.amdhsa_user_sgpr_dispatch_id 0
		.amdhsa_user_sgpr_private_segment_size 0
		.amdhsa_wavefront_size32 1
		.amdhsa_uses_dynamic_stack 0
		.amdhsa_enable_private_segment 0
		.amdhsa_system_sgpr_workgroup_id_x 1
		.amdhsa_system_sgpr_workgroup_id_y 0
		.amdhsa_system_sgpr_workgroup_id_z 0
		.amdhsa_system_sgpr_workgroup_info 0
		.amdhsa_system_vgpr_workitem_id 0
		.amdhsa_next_free_vgpr 2
		.amdhsa_next_free_sgpr 2
		.amdhsa_reserve_vcc 0
		.amdhsa_float_round_mode_32 0
		.amdhsa_float_round_mode_16_64 0
		.amdhsa_float_denorm_mode_32 3
		.amdhsa_float_denorm_mode_16_64 3
		.amdhsa_dx10_clamp 1
		.amdhsa_ieee_mode 1
		.amdhsa_fp16_overflow 0
		.amdhsa_workgroup_processor_mode 1
		.amdhsa_memory_ordered 1
		.amdhsa_forward_progress 0
		.amdhsa_shared_vgpr_count 0
		.amdhsa_exception_fp_ieee_invalid_op 0
		.amdhsa_exception_fp_denorm_src 0
		.amdhsa_exception_fp_ieee_div_zero 0
		.amdhsa_exception_fp_ieee_overflow 0
		.amdhsa_exception_fp_ieee_underflow 0
		.amdhsa_exception_fp_ieee_inexact 0
		.amdhsa_exception_int_div_zero 0
	.end_amdhsa_kernel
	.section	.text._Z21device_test_warp_maskILj63EEvP10TestStatus,"axG",@progbits,_Z21device_test_warp_maskILj63EEvP10TestStatus,comdat
.Lfunc_end112:
	.size	_Z21device_test_warp_maskILj63EEvP10TestStatus, .Lfunc_end112-_Z21device_test_warp_maskILj63EEvP10TestStatus
                                        ; -- End function
	.section	.AMDGPU.csdata,"",@progbits
; Kernel info:
; codeLenInByte = 36
; NumSgprs: 2
; NumVgprs: 2
; ScratchSize: 0
; MemoryBound: 0
; FloatMode: 240
; IeeeMode: 1
; LDSByteSize: 0 bytes/workgroup (compile time only)
; SGPRBlocks: 0
; VGPRBlocks: 0
; NumSGPRsForWavesPerEU: 2
; NumVGPRsForWavesPerEU: 2
; Occupancy: 16
; WaveLimiterHint : 0
; COMPUTE_PGM_RSRC2:SCRATCH_EN: 0
; COMPUTE_PGM_RSRC2:USER_SGPR: 15
; COMPUTE_PGM_RSRC2:TRAP_HANDLER: 0
; COMPUTE_PGM_RSRC2:TGID_X_EN: 1
; COMPUTE_PGM_RSRC2:TGID_Y_EN: 0
; COMPUTE_PGM_RSRC2:TGID_Z_EN: 0
; COMPUTE_PGM_RSRC2:TIDIG_COMP_CNT: 0
	.section	.text._Z21device_test_warp_maskILj64EEvP10TestStatus,"axG",@progbits,_Z21device_test_warp_maskILj64EEvP10TestStatus,comdat
	.protected	_Z21device_test_warp_maskILj64EEvP10TestStatus ; -- Begin function _Z21device_test_warp_maskILj64EEvP10TestStatus
	.globl	_Z21device_test_warp_maskILj64EEvP10TestStatus
	.p2align	8
	.type	_Z21device_test_warp_maskILj64EEvP10TestStatus,@function
_Z21device_test_warp_maskILj64EEvP10TestStatus: ; @_Z21device_test_warp_maskILj64EEvP10TestStatus
; %bb.0:
	s_load_b64 s[0:1], s[0:1], 0x0
	v_mov_b32_e32 v1, 1
	s_waitcnt lgkmcnt(0)
	global_store_b8 v0, v1, s[0:1]
	s_nop 0
	s_sendmsg sendmsg(MSG_DEALLOC_VGPRS)
	s_endpgm
	.section	.rodata,"a",@progbits
	.p2align	6, 0x0
	.amdhsa_kernel _Z21device_test_warp_maskILj64EEvP10TestStatus
		.amdhsa_group_segment_fixed_size 0
		.amdhsa_private_segment_fixed_size 0
		.amdhsa_kernarg_size 8
		.amdhsa_user_sgpr_count 15
		.amdhsa_user_sgpr_dispatch_ptr 0
		.amdhsa_user_sgpr_queue_ptr 0
		.amdhsa_user_sgpr_kernarg_segment_ptr 1
		.amdhsa_user_sgpr_dispatch_id 0
		.amdhsa_user_sgpr_private_segment_size 0
		.amdhsa_wavefront_size32 1
		.amdhsa_uses_dynamic_stack 0
		.amdhsa_enable_private_segment 0
		.amdhsa_system_sgpr_workgroup_id_x 1
		.amdhsa_system_sgpr_workgroup_id_y 0
		.amdhsa_system_sgpr_workgroup_id_z 0
		.amdhsa_system_sgpr_workgroup_info 0
		.amdhsa_system_vgpr_workitem_id 0
		.amdhsa_next_free_vgpr 2
		.amdhsa_next_free_sgpr 2
		.amdhsa_reserve_vcc 0
		.amdhsa_float_round_mode_32 0
		.amdhsa_float_round_mode_16_64 0
		.amdhsa_float_denorm_mode_32 3
		.amdhsa_float_denorm_mode_16_64 3
		.amdhsa_dx10_clamp 1
		.amdhsa_ieee_mode 1
		.amdhsa_fp16_overflow 0
		.amdhsa_workgroup_processor_mode 1
		.amdhsa_memory_ordered 1
		.amdhsa_forward_progress 0
		.amdhsa_shared_vgpr_count 0
		.amdhsa_exception_fp_ieee_invalid_op 0
		.amdhsa_exception_fp_denorm_src 0
		.amdhsa_exception_fp_ieee_div_zero 0
		.amdhsa_exception_fp_ieee_overflow 0
		.amdhsa_exception_fp_ieee_underflow 0
		.amdhsa_exception_fp_ieee_inexact 0
		.amdhsa_exception_int_div_zero 0
	.end_amdhsa_kernel
	.section	.text._Z21device_test_warp_maskILj64EEvP10TestStatus,"axG",@progbits,_Z21device_test_warp_maskILj64EEvP10TestStatus,comdat
.Lfunc_end113:
	.size	_Z21device_test_warp_maskILj64EEvP10TestStatus, .Lfunc_end113-_Z21device_test_warp_maskILj64EEvP10TestStatus
                                        ; -- End function
	.section	.AMDGPU.csdata,"",@progbits
; Kernel info:
; codeLenInByte = 36
; NumSgprs: 2
; NumVgprs: 2
; ScratchSize: 0
; MemoryBound: 0
; FloatMode: 240
; IeeeMode: 1
; LDSByteSize: 0 bytes/workgroup (compile time only)
; SGPRBlocks: 0
; VGPRBlocks: 0
; NumSGPRsForWavesPerEU: 2
; NumVGPRsForWavesPerEU: 2
; Occupancy: 16
; WaveLimiterHint : 0
; COMPUTE_PGM_RSRC2:SCRATCH_EN: 0
; COMPUTE_PGM_RSRC2:USER_SGPR: 15
; COMPUTE_PGM_RSRC2:TRAP_HANDLER: 0
; COMPUTE_PGM_RSRC2:TGID_X_EN: 1
; COMPUTE_PGM_RSRC2:TGID_Y_EN: 0
; COMPUTE_PGM_RSRC2:TGID_Z_EN: 0
; COMPUTE_PGM_RSRC2:TIDIG_COMP_CNT: 0
	.text
	.p2alignl 7, 3214868480
	.fill 96, 4, 3214868480
	.type	__hip_cuid_a7870f3fa1b68e3a,@object ; @__hip_cuid_a7870f3fa1b68e3a
	.section	.bss,"aw",@nobits
	.globl	__hip_cuid_a7870f3fa1b68e3a
__hip_cuid_a7870f3fa1b68e3a:
	.byte	0                               ; 0x0
	.size	__hip_cuid_a7870f3fa1b68e3a, 1

	.ident	"AMD clang version 19.0.0git (https://github.com/RadeonOpenCompute/llvm-project roc-6.4.0 25133 c7fe45cf4b819c5991fe208aaa96edf142730f1d)"
	.section	".note.GNU-stack","",@progbits
	.addrsig
	.addrsig_sym __hip_cuid_a7870f3fa1b68e3a
	.amdgpu_metadata
---
amdhsa.kernels:
  - .args:
      - .address_space:  global
        .offset:         0
        .size:           8
        .value_kind:     global_buffer
      - .offset:         8
        .size:           4
        .value_kind:     hidden_block_count_x
      - .offset:         12
        .size:           4
        .value_kind:     hidden_block_count_y
      - .offset:         16
        .size:           4
        .value_kind:     hidden_block_count_z
      - .offset:         20
        .size:           2
        .value_kind:     hidden_group_size_x
      - .offset:         22
        .size:           2
        .value_kind:     hidden_group_size_y
      - .offset:         24
        .size:           2
        .value_kind:     hidden_group_size_z
      - .offset:         26
        .size:           2
        .value_kind:     hidden_remainder_x
      - .offset:         28
        .size:           2
        .value_kind:     hidden_remainder_y
      - .offset:         30
        .size:           2
        .value_kind:     hidden_remainder_z
      - .offset:         48
        .size:           8
        .value_kind:     hidden_global_offset_x
      - .offset:         56
        .size:           8
        .value_kind:     hidden_global_offset_y
      - .offset:         64
        .size:           8
        .value_kind:     hidden_global_offset_z
      - .offset:         72
        .size:           2
        .value_kind:     hidden_grid_dims
    .group_segment_fixed_size: 0
    .kernarg_segment_align: 8
    .kernarg_segment_size: 264
    .language:       OpenCL C
    .language_version:
      - 2
      - 0
    .max_flat_workgroup_size: 1024
    .name:           _Z14warp_id_kernelPj
    .private_segment_fixed_size: 0
    .sgpr_count:     18
    .sgpr_spill_count: 0
    .symbol:         _Z14warp_id_kernelPj.kd
    .uniform_work_group_size: 1
    .uses_dynamic_stack: false
    .vgpr_count:     6
    .vgpr_spill_count: 0
    .wavefront_size: 32
    .workgroup_processor_mode: 1
  - .args:
      - .address_space:  global
        .offset:         0
        .size:           8
        .value_kind:     global_buffer
      - .offset:         8
        .size:           4
        .value_kind:     by_value
      - .offset:         16
        .size:           4
        .value_kind:     hidden_block_count_x
      - .offset:         20
        .size:           4
        .value_kind:     hidden_block_count_y
      - .offset:         24
        .size:           4
        .value_kind:     hidden_block_count_z
      - .offset:         28
        .size:           2
        .value_kind:     hidden_group_size_x
      - .offset:         30
        .size:           2
        .value_kind:     hidden_group_size_y
      - .offset:         32
        .size:           2
        .value_kind:     hidden_group_size_z
      - .offset:         34
        .size:           2
        .value_kind:     hidden_remainder_x
      - .offset:         36
        .size:           2
        .value_kind:     hidden_remainder_y
      - .offset:         38
        .size:           2
        .value_kind:     hidden_remainder_z
      - .offset:         56
        .size:           8
        .value_kind:     hidden_global_offset_x
      - .offset:         64
        .size:           8
        .value_kind:     hidden_global_offset_y
      - .offset:         72
        .size:           8
        .value_kind:     hidden_global_offset_z
      - .offset:         80
        .size:           2
        .value_kind:     hidden_grid_dims
    .group_segment_fixed_size: 0
    .kernarg_segment_align: 8
    .kernarg_segment_size: 272
    .language:       OpenCL C
    .language_version:
      - 2
      - 0
    .max_flat_workgroup_size: 1024
    .name:           _Z17shuffle_up_kernelILj64E12hip_bfloat16EvPT0_j
    .private_segment_fixed_size: 0
    .sgpr_count:     18
    .sgpr_spill_count: 0
    .symbol:         _Z17shuffle_up_kernelILj64E12hip_bfloat16EvPT0_j.kd
    .uniform_work_group_size: 1
    .uses_dynamic_stack: false
    .vgpr_count:     5
    .vgpr_spill_count: 0
    .wavefront_size: 32
    .workgroup_processor_mode: 1
  - .args:
      - .address_space:  global
        .offset:         0
        .size:           8
        .value_kind:     global_buffer
      - .offset:         8
        .size:           4
        .value_kind:     by_value
      - .offset:         16
        .size:           4
        .value_kind:     hidden_block_count_x
      - .offset:         20
        .size:           4
        .value_kind:     hidden_block_count_y
      - .offset:         24
        .size:           4
        .value_kind:     hidden_block_count_z
      - .offset:         28
        .size:           2
        .value_kind:     hidden_group_size_x
      - .offset:         30
        .size:           2
        .value_kind:     hidden_group_size_y
      - .offset:         32
        .size:           2
        .value_kind:     hidden_group_size_z
      - .offset:         34
        .size:           2
        .value_kind:     hidden_remainder_x
      - .offset:         36
        .size:           2
        .value_kind:     hidden_remainder_y
      - .offset:         38
        .size:           2
        .value_kind:     hidden_remainder_z
      - .offset:         56
        .size:           8
        .value_kind:     hidden_global_offset_x
      - .offset:         64
        .size:           8
        .value_kind:     hidden_global_offset_y
      - .offset:         72
        .size:           8
        .value_kind:     hidden_global_offset_z
      - .offset:         80
        .size:           2
        .value_kind:     hidden_grid_dims
    .group_segment_fixed_size: 0
    .kernarg_segment_align: 8
    .kernarg_segment_size: 272
    .language:       OpenCL C
    .language_version:
      - 2
      - 0
    .max_flat_workgroup_size: 1024
    .name:           _Z17shuffle_up_kernelILj64E6__halfEvPT0_j
    .private_segment_fixed_size: 0
    .sgpr_count:     18
    .sgpr_spill_count: 0
    .symbol:         _Z17shuffle_up_kernelILj64E6__halfEvPT0_j.kd
    .uniform_work_group_size: 1
    .uses_dynamic_stack: false
    .vgpr_count:     5
    .vgpr_spill_count: 0
    .wavefront_size: 32
    .workgroup_processor_mode: 1
  - .args:
      - .address_space:  global
        .offset:         0
        .size:           8
        .value_kind:     global_buffer
      - .offset:         8
        .size:           4
        .value_kind:     by_value
      - .offset:         16
        .size:           4
        .value_kind:     hidden_block_count_x
      - .offset:         20
        .size:           4
        .value_kind:     hidden_block_count_y
      - .offset:         24
        .size:           4
        .value_kind:     hidden_block_count_z
      - .offset:         28
        .size:           2
        .value_kind:     hidden_group_size_x
      - .offset:         30
        .size:           2
        .value_kind:     hidden_group_size_y
      - .offset:         32
        .size:           2
        .value_kind:     hidden_group_size_z
      - .offset:         34
        .size:           2
        .value_kind:     hidden_remainder_x
      - .offset:         36
        .size:           2
        .value_kind:     hidden_remainder_y
      - .offset:         38
        .size:           2
        .value_kind:     hidden_remainder_z
      - .offset:         56
        .size:           8
        .value_kind:     hidden_global_offset_x
      - .offset:         64
        .size:           8
        .value_kind:     hidden_global_offset_y
      - .offset:         72
        .size:           8
        .value_kind:     hidden_global_offset_z
      - .offset:         80
        .size:           2
        .value_kind:     hidden_grid_dims
    .group_segment_fixed_size: 0
    .kernarg_segment_align: 8
    .kernarg_segment_size: 272
    .language:       OpenCL C
    .language_version:
      - 2
      - 0
    .max_flat_workgroup_size: 1024
    .name:           _Z17shuffle_up_kernelILj64EhEvPT0_j
    .private_segment_fixed_size: 0
    .sgpr_count:     18
    .sgpr_spill_count: 0
    .symbol:         _Z17shuffle_up_kernelILj64EhEvPT0_j.kd
    .uniform_work_group_size: 1
    .uses_dynamic_stack: false
    .vgpr_count:     4
    .vgpr_spill_count: 0
    .wavefront_size: 32
    .workgroup_processor_mode: 1
  - .args:
      - .address_space:  global
        .offset:         0
        .size:           8
        .value_kind:     global_buffer
      - .offset:         8
        .size:           4
        .value_kind:     by_value
      - .offset:         16
        .size:           4
        .value_kind:     hidden_block_count_x
      - .offset:         20
        .size:           4
        .value_kind:     hidden_block_count_y
      - .offset:         24
        .size:           4
        .value_kind:     hidden_block_count_z
      - .offset:         28
        .size:           2
        .value_kind:     hidden_group_size_x
      - .offset:         30
        .size:           2
        .value_kind:     hidden_group_size_y
      - .offset:         32
        .size:           2
        .value_kind:     hidden_group_size_z
      - .offset:         34
        .size:           2
        .value_kind:     hidden_remainder_x
      - .offset:         36
        .size:           2
        .value_kind:     hidden_remainder_y
      - .offset:         38
        .size:           2
        .value_kind:     hidden_remainder_z
      - .offset:         56
        .size:           8
        .value_kind:     hidden_global_offset_x
      - .offset:         64
        .size:           8
        .value_kind:     hidden_global_offset_y
      - .offset:         72
        .size:           8
        .value_kind:     hidden_global_offset_z
      - .offset:         80
        .size:           2
        .value_kind:     hidden_grid_dims
    .group_segment_fixed_size: 0
    .kernarg_segment_align: 8
    .kernarg_segment_size: 272
    .language:       OpenCL C
    .language_version:
      - 2
      - 0
    .max_flat_workgroup_size: 1024
    .name:           _Z17shuffle_up_kernelILj64EdEvPT0_j
    .private_segment_fixed_size: 0
    .sgpr_count:     18
    .sgpr_spill_count: 0
    .symbol:         _Z17shuffle_up_kernelILj64EdEvPT0_j.kd
    .uniform_work_group_size: 1
    .uses_dynamic_stack: false
    .vgpr_count:     6
    .vgpr_spill_count: 0
    .wavefront_size: 32
    .workgroup_processor_mode: 1
  - .args:
      - .address_space:  global
        .offset:         0
        .size:           8
        .value_kind:     global_buffer
      - .offset:         8
        .size:           4
        .value_kind:     by_value
      - .offset:         16
        .size:           4
        .value_kind:     hidden_block_count_x
      - .offset:         20
        .size:           4
        .value_kind:     hidden_block_count_y
      - .offset:         24
        .size:           4
        .value_kind:     hidden_block_count_z
      - .offset:         28
        .size:           2
        .value_kind:     hidden_group_size_x
      - .offset:         30
        .size:           2
        .value_kind:     hidden_group_size_y
      - .offset:         32
        .size:           2
        .value_kind:     hidden_group_size_z
      - .offset:         34
        .size:           2
        .value_kind:     hidden_remainder_x
      - .offset:         36
        .size:           2
        .value_kind:     hidden_remainder_y
      - .offset:         38
        .size:           2
        .value_kind:     hidden_remainder_z
      - .offset:         56
        .size:           8
        .value_kind:     hidden_global_offset_x
      - .offset:         64
        .size:           8
        .value_kind:     hidden_global_offset_y
      - .offset:         72
        .size:           8
        .value_kind:     hidden_global_offset_z
      - .offset:         80
        .size:           2
        .value_kind:     hidden_grid_dims
    .group_segment_fixed_size: 0
    .kernarg_segment_align: 8
    .kernarg_segment_size: 272
    .language:       OpenCL C
    .language_version:
      - 2
      - 0
    .max_flat_workgroup_size: 1024
    .name:           _Z17shuffle_up_kernelILj64EfEvPT0_j
    .private_segment_fixed_size: 0
    .sgpr_count:     18
    .sgpr_spill_count: 0
    .symbol:         _Z17shuffle_up_kernelILj64EfEvPT0_j.kd
    .uniform_work_group_size: 1
    .uses_dynamic_stack: false
    .vgpr_count:     5
    .vgpr_spill_count: 0
    .wavefront_size: 32
    .workgroup_processor_mode: 1
  - .args:
      - .address_space:  global
        .offset:         0
        .size:           8
        .value_kind:     global_buffer
      - .offset:         8
        .size:           4
        .value_kind:     by_value
      - .offset:         16
        .size:           4
        .value_kind:     hidden_block_count_x
      - .offset:         20
        .size:           4
        .value_kind:     hidden_block_count_y
      - .offset:         24
        .size:           4
        .value_kind:     hidden_block_count_z
      - .offset:         28
        .size:           2
        .value_kind:     hidden_group_size_x
      - .offset:         30
        .size:           2
        .value_kind:     hidden_group_size_y
      - .offset:         32
        .size:           2
        .value_kind:     hidden_group_size_z
      - .offset:         34
        .size:           2
        .value_kind:     hidden_remainder_x
      - .offset:         36
        .size:           2
        .value_kind:     hidden_remainder_y
      - .offset:         38
        .size:           2
        .value_kind:     hidden_remainder_z
      - .offset:         56
        .size:           8
        .value_kind:     hidden_global_offset_x
      - .offset:         64
        .size:           8
        .value_kind:     hidden_global_offset_y
      - .offset:         72
        .size:           8
        .value_kind:     hidden_global_offset_z
      - .offset:         80
        .size:           2
        .value_kind:     hidden_grid_dims
    .group_segment_fixed_size: 0
    .kernarg_segment_align: 8
    .kernarg_segment_size: 272
    .language:       OpenCL C
    .language_version:
      - 2
      - 0
    .max_flat_workgroup_size: 1024
    .name:           _Z17shuffle_up_kernelILj32EhEvPT0_j
    .private_segment_fixed_size: 0
    .sgpr_count:     18
    .sgpr_spill_count: 0
    .symbol:         _Z17shuffle_up_kernelILj32EhEvPT0_j.kd
    .uniform_work_group_size: 1
    .uses_dynamic_stack: false
    .vgpr_count:     4
    .vgpr_spill_count: 0
    .wavefront_size: 32
    .workgroup_processor_mode: 1
  - .args:
      - .address_space:  global
        .offset:         0
        .size:           8
        .value_kind:     global_buffer
      - .offset:         8
        .size:           4
        .value_kind:     by_value
      - .offset:         16
        .size:           4
        .value_kind:     hidden_block_count_x
      - .offset:         20
        .size:           4
        .value_kind:     hidden_block_count_y
      - .offset:         24
        .size:           4
        .value_kind:     hidden_block_count_z
      - .offset:         28
        .size:           2
        .value_kind:     hidden_group_size_x
      - .offset:         30
        .size:           2
        .value_kind:     hidden_group_size_y
      - .offset:         32
        .size:           2
        .value_kind:     hidden_group_size_z
      - .offset:         34
        .size:           2
        .value_kind:     hidden_remainder_x
      - .offset:         36
        .size:           2
        .value_kind:     hidden_remainder_y
      - .offset:         38
        .size:           2
        .value_kind:     hidden_remainder_z
      - .offset:         56
        .size:           8
        .value_kind:     hidden_global_offset_x
      - .offset:         64
        .size:           8
        .value_kind:     hidden_global_offset_y
      - .offset:         72
        .size:           8
        .value_kind:     hidden_global_offset_z
      - .offset:         80
        .size:           2
        .value_kind:     hidden_grid_dims
    .group_segment_fixed_size: 0
    .kernarg_segment_align: 8
    .kernarg_segment_size: 272
    .language:       OpenCL C
    .language_version:
      - 2
      - 0
    .max_flat_workgroup_size: 1024
    .name:           _Z17shuffle_up_kernelILj32E12hip_bfloat16EvPT0_j
    .private_segment_fixed_size: 0
    .sgpr_count:     18
    .sgpr_spill_count: 0
    .symbol:         _Z17shuffle_up_kernelILj32E12hip_bfloat16EvPT0_j.kd
    .uniform_work_group_size: 1
    .uses_dynamic_stack: false
    .vgpr_count:     5
    .vgpr_spill_count: 0
    .wavefront_size: 32
    .workgroup_processor_mode: 1
  - .args:
      - .address_space:  global
        .offset:         0
        .size:           8
        .value_kind:     global_buffer
      - .offset:         8
        .size:           4
        .value_kind:     by_value
      - .offset:         16
        .size:           4
        .value_kind:     hidden_block_count_x
      - .offset:         20
        .size:           4
        .value_kind:     hidden_block_count_y
      - .offset:         24
        .size:           4
        .value_kind:     hidden_block_count_z
      - .offset:         28
        .size:           2
        .value_kind:     hidden_group_size_x
      - .offset:         30
        .size:           2
        .value_kind:     hidden_group_size_y
      - .offset:         32
        .size:           2
        .value_kind:     hidden_group_size_z
      - .offset:         34
        .size:           2
        .value_kind:     hidden_remainder_x
      - .offset:         36
        .size:           2
        .value_kind:     hidden_remainder_y
      - .offset:         38
        .size:           2
        .value_kind:     hidden_remainder_z
      - .offset:         56
        .size:           8
        .value_kind:     hidden_global_offset_x
      - .offset:         64
        .size:           8
        .value_kind:     hidden_global_offset_y
      - .offset:         72
        .size:           8
        .value_kind:     hidden_global_offset_z
      - .offset:         80
        .size:           2
        .value_kind:     hidden_grid_dims
    .group_segment_fixed_size: 0
    .kernarg_segment_align: 8
    .kernarg_segment_size: 272
    .language:       OpenCL C
    .language_version:
      - 2
      - 0
    .max_flat_workgroup_size: 1024
    .name:           _Z17shuffle_up_kernelILj32E6__halfEvPT0_j
    .private_segment_fixed_size: 0
    .sgpr_count:     18
    .sgpr_spill_count: 0
    .symbol:         _Z17shuffle_up_kernelILj32E6__halfEvPT0_j.kd
    .uniform_work_group_size: 1
    .uses_dynamic_stack: false
    .vgpr_count:     5
    .vgpr_spill_count: 0
    .wavefront_size: 32
    .workgroup_processor_mode: 1
  - .args:
      - .address_space:  global
        .offset:         0
        .size:           8
        .value_kind:     global_buffer
      - .offset:         8
        .size:           4
        .value_kind:     by_value
      - .offset:         16
        .size:           4
        .value_kind:     hidden_block_count_x
      - .offset:         20
        .size:           4
        .value_kind:     hidden_block_count_y
      - .offset:         24
        .size:           4
        .value_kind:     hidden_block_count_z
      - .offset:         28
        .size:           2
        .value_kind:     hidden_group_size_x
      - .offset:         30
        .size:           2
        .value_kind:     hidden_group_size_y
      - .offset:         32
        .size:           2
        .value_kind:     hidden_group_size_z
      - .offset:         34
        .size:           2
        .value_kind:     hidden_remainder_x
      - .offset:         36
        .size:           2
        .value_kind:     hidden_remainder_y
      - .offset:         38
        .size:           2
        .value_kind:     hidden_remainder_z
      - .offset:         56
        .size:           8
        .value_kind:     hidden_global_offset_x
      - .offset:         64
        .size:           8
        .value_kind:     hidden_global_offset_y
      - .offset:         72
        .size:           8
        .value_kind:     hidden_global_offset_z
      - .offset:         80
        .size:           2
        .value_kind:     hidden_grid_dims
    .group_segment_fixed_size: 0
    .kernarg_segment_align: 8
    .kernarg_segment_size: 272
    .language:       OpenCL C
    .language_version:
      - 2
      - 0
    .max_flat_workgroup_size: 1024
    .name:           _Z17shuffle_up_kernelILj32EdEvPT0_j
    .private_segment_fixed_size: 0
    .sgpr_count:     18
    .sgpr_spill_count: 0
    .symbol:         _Z17shuffle_up_kernelILj32EdEvPT0_j.kd
    .uniform_work_group_size: 1
    .uses_dynamic_stack: false
    .vgpr_count:     6
    .vgpr_spill_count: 0
    .wavefront_size: 32
    .workgroup_processor_mode: 1
  - .args:
      - .address_space:  global
        .offset:         0
        .size:           8
        .value_kind:     global_buffer
      - .offset:         8
        .size:           4
        .value_kind:     by_value
      - .offset:         16
        .size:           4
        .value_kind:     hidden_block_count_x
      - .offset:         20
        .size:           4
        .value_kind:     hidden_block_count_y
      - .offset:         24
        .size:           4
        .value_kind:     hidden_block_count_z
      - .offset:         28
        .size:           2
        .value_kind:     hidden_group_size_x
      - .offset:         30
        .size:           2
        .value_kind:     hidden_group_size_y
      - .offset:         32
        .size:           2
        .value_kind:     hidden_group_size_z
      - .offset:         34
        .size:           2
        .value_kind:     hidden_remainder_x
      - .offset:         36
        .size:           2
        .value_kind:     hidden_remainder_y
      - .offset:         38
        .size:           2
        .value_kind:     hidden_remainder_z
      - .offset:         56
        .size:           8
        .value_kind:     hidden_global_offset_x
      - .offset:         64
        .size:           8
        .value_kind:     hidden_global_offset_y
      - .offset:         72
        .size:           8
        .value_kind:     hidden_global_offset_z
      - .offset:         80
        .size:           2
        .value_kind:     hidden_grid_dims
    .group_segment_fixed_size: 0
    .kernarg_segment_align: 8
    .kernarg_segment_size: 272
    .language:       OpenCL C
    .language_version:
      - 2
      - 0
    .max_flat_workgroup_size: 1024
    .name:           _Z17shuffle_up_kernelILj32EfEvPT0_j
    .private_segment_fixed_size: 0
    .sgpr_count:     18
    .sgpr_spill_count: 0
    .symbol:         _Z17shuffle_up_kernelILj32EfEvPT0_j.kd
    .uniform_work_group_size: 1
    .uses_dynamic_stack: false
    .vgpr_count:     5
    .vgpr_spill_count: 0
    .wavefront_size: 32
    .workgroup_processor_mode: 1
  - .args:
      - .address_space:  global
        .offset:         0
        .size:           8
        .value_kind:     global_buffer
      - .offset:         8
        .size:           4
        .value_kind:     by_value
      - .offset:         16
        .size:           4
        .value_kind:     hidden_block_count_x
      - .offset:         20
        .size:           4
        .value_kind:     hidden_block_count_y
      - .offset:         24
        .size:           4
        .value_kind:     hidden_block_count_z
      - .offset:         28
        .size:           2
        .value_kind:     hidden_group_size_x
      - .offset:         30
        .size:           2
        .value_kind:     hidden_group_size_y
      - .offset:         32
        .size:           2
        .value_kind:     hidden_group_size_z
      - .offset:         34
        .size:           2
        .value_kind:     hidden_remainder_x
      - .offset:         36
        .size:           2
        .value_kind:     hidden_remainder_y
      - .offset:         38
        .size:           2
        .value_kind:     hidden_remainder_z
      - .offset:         56
        .size:           8
        .value_kind:     hidden_global_offset_x
      - .offset:         64
        .size:           8
        .value_kind:     hidden_global_offset_y
      - .offset:         72
        .size:           8
        .value_kind:     hidden_global_offset_z
      - .offset:         80
        .size:           2
        .value_kind:     hidden_grid_dims
    .group_segment_fixed_size: 0
    .kernarg_segment_align: 8
    .kernarg_segment_size: 272
    .language:       OpenCL C
    .language_version:
      - 2
      - 0
    .max_flat_workgroup_size: 1024
    .name:           _Z17shuffle_up_kernelILj2EiEvPT0_j
    .private_segment_fixed_size: 0
    .sgpr_count:     18
    .sgpr_spill_count: 0
    .symbol:         _Z17shuffle_up_kernelILj2EiEvPT0_j.kd
    .uniform_work_group_size: 1
    .uses_dynamic_stack: false
    .vgpr_count:     6
    .vgpr_spill_count: 0
    .wavefront_size: 32
    .workgroup_processor_mode: 1
  - .args:
      - .address_space:  global
        .offset:         0
        .size:           8
        .value_kind:     global_buffer
      - .offset:         8
        .size:           4
        .value_kind:     by_value
      - .offset:         16
        .size:           4
        .value_kind:     hidden_block_count_x
      - .offset:         20
        .size:           4
        .value_kind:     hidden_block_count_y
      - .offset:         24
        .size:           4
        .value_kind:     hidden_block_count_z
      - .offset:         28
        .size:           2
        .value_kind:     hidden_group_size_x
      - .offset:         30
        .size:           2
        .value_kind:     hidden_group_size_y
      - .offset:         32
        .size:           2
        .value_kind:     hidden_group_size_z
      - .offset:         34
        .size:           2
        .value_kind:     hidden_remainder_x
      - .offset:         36
        .size:           2
        .value_kind:     hidden_remainder_y
      - .offset:         38
        .size:           2
        .value_kind:     hidden_remainder_z
      - .offset:         56
        .size:           8
        .value_kind:     hidden_global_offset_x
      - .offset:         64
        .size:           8
        .value_kind:     hidden_global_offset_y
      - .offset:         72
        .size:           8
        .value_kind:     hidden_global_offset_z
      - .offset:         80
        .size:           2
        .value_kind:     hidden_grid_dims
    .group_segment_fixed_size: 0
    .kernarg_segment_align: 8
    .kernarg_segment_size: 272
    .language:       OpenCL C
    .language_version:
      - 2
      - 0
    .max_flat_workgroup_size: 1024
    .name:           _Z17shuffle_up_kernelILj4EiEvPT0_j
    .private_segment_fixed_size: 0
    .sgpr_count:     18
    .sgpr_spill_count: 0
    .symbol:         _Z17shuffle_up_kernelILj4EiEvPT0_j.kd
    .uniform_work_group_size: 1
    .uses_dynamic_stack: false
    .vgpr_count:     6
    .vgpr_spill_count: 0
    .wavefront_size: 32
    .workgroup_processor_mode: 1
  - .args:
      - .address_space:  global
        .offset:         0
        .size:           8
        .value_kind:     global_buffer
      - .offset:         8
        .size:           4
        .value_kind:     by_value
      - .offset:         16
        .size:           4
        .value_kind:     hidden_block_count_x
      - .offset:         20
        .size:           4
        .value_kind:     hidden_block_count_y
      - .offset:         24
        .size:           4
        .value_kind:     hidden_block_count_z
      - .offset:         28
        .size:           2
        .value_kind:     hidden_group_size_x
      - .offset:         30
        .size:           2
        .value_kind:     hidden_group_size_y
      - .offset:         32
        .size:           2
        .value_kind:     hidden_group_size_z
      - .offset:         34
        .size:           2
        .value_kind:     hidden_remainder_x
      - .offset:         36
        .size:           2
        .value_kind:     hidden_remainder_y
      - .offset:         38
        .size:           2
        .value_kind:     hidden_remainder_z
      - .offset:         56
        .size:           8
        .value_kind:     hidden_global_offset_x
      - .offset:         64
        .size:           8
        .value_kind:     hidden_global_offset_y
      - .offset:         72
        .size:           8
        .value_kind:     hidden_global_offset_z
      - .offset:         80
        .size:           2
        .value_kind:     hidden_grid_dims
    .group_segment_fixed_size: 0
    .kernarg_segment_align: 8
    .kernarg_segment_size: 272
    .language:       OpenCL C
    .language_version:
      - 2
      - 0
    .max_flat_workgroup_size: 1024
    .name:           _Z17shuffle_up_kernelILj8EiEvPT0_j
    .private_segment_fixed_size: 0
    .sgpr_count:     18
    .sgpr_spill_count: 0
    .symbol:         _Z17shuffle_up_kernelILj8EiEvPT0_j.kd
    .uniform_work_group_size: 1
    .uses_dynamic_stack: false
    .vgpr_count:     6
    .vgpr_spill_count: 0
    .wavefront_size: 32
    .workgroup_processor_mode: 1
  - .args:
      - .address_space:  global
        .offset:         0
        .size:           8
        .value_kind:     global_buffer
      - .offset:         8
        .size:           4
        .value_kind:     by_value
      - .offset:         16
        .size:           4
        .value_kind:     hidden_block_count_x
      - .offset:         20
        .size:           4
        .value_kind:     hidden_block_count_y
      - .offset:         24
        .size:           4
        .value_kind:     hidden_block_count_z
      - .offset:         28
        .size:           2
        .value_kind:     hidden_group_size_x
      - .offset:         30
        .size:           2
        .value_kind:     hidden_group_size_y
      - .offset:         32
        .size:           2
        .value_kind:     hidden_group_size_z
      - .offset:         34
        .size:           2
        .value_kind:     hidden_remainder_x
      - .offset:         36
        .size:           2
        .value_kind:     hidden_remainder_y
      - .offset:         38
        .size:           2
        .value_kind:     hidden_remainder_z
      - .offset:         56
        .size:           8
        .value_kind:     hidden_global_offset_x
      - .offset:         64
        .size:           8
        .value_kind:     hidden_global_offset_y
      - .offset:         72
        .size:           8
        .value_kind:     hidden_global_offset_z
      - .offset:         80
        .size:           2
        .value_kind:     hidden_grid_dims
    .group_segment_fixed_size: 0
    .kernarg_segment_align: 8
    .kernarg_segment_size: 272
    .language:       OpenCL C
    .language_version:
      - 2
      - 0
    .max_flat_workgroup_size: 1024
    .name:           _Z17shuffle_up_kernelILj16EiEvPT0_j
    .private_segment_fixed_size: 0
    .sgpr_count:     18
    .sgpr_spill_count: 0
    .symbol:         _Z17shuffle_up_kernelILj16EiEvPT0_j.kd
    .uniform_work_group_size: 1
    .uses_dynamic_stack: false
    .vgpr_count:     6
    .vgpr_spill_count: 0
    .wavefront_size: 32
    .workgroup_processor_mode: 1
  - .args:
      - .address_space:  global
        .offset:         0
        .size:           8
        .value_kind:     global_buffer
      - .offset:         8
        .size:           4
        .value_kind:     by_value
      - .offset:         16
        .size:           4
        .value_kind:     hidden_block_count_x
      - .offset:         20
        .size:           4
        .value_kind:     hidden_block_count_y
      - .offset:         24
        .size:           4
        .value_kind:     hidden_block_count_z
      - .offset:         28
        .size:           2
        .value_kind:     hidden_group_size_x
      - .offset:         30
        .size:           2
        .value_kind:     hidden_group_size_y
      - .offset:         32
        .size:           2
        .value_kind:     hidden_group_size_z
      - .offset:         34
        .size:           2
        .value_kind:     hidden_remainder_x
      - .offset:         36
        .size:           2
        .value_kind:     hidden_remainder_y
      - .offset:         38
        .size:           2
        .value_kind:     hidden_remainder_z
      - .offset:         56
        .size:           8
        .value_kind:     hidden_global_offset_x
      - .offset:         64
        .size:           8
        .value_kind:     hidden_global_offset_y
      - .offset:         72
        .size:           8
        .value_kind:     hidden_global_offset_z
      - .offset:         80
        .size:           2
        .value_kind:     hidden_grid_dims
    .group_segment_fixed_size: 0
    .kernarg_segment_align: 8
    .kernarg_segment_size: 272
    .language:       OpenCL C
    .language_version:
      - 2
      - 0
    .max_flat_workgroup_size: 1024
    .name:           _Z17shuffle_up_kernelILj32EiEvPT0_j
    .private_segment_fixed_size: 0
    .sgpr_count:     18
    .sgpr_spill_count: 0
    .symbol:         _Z17shuffle_up_kernelILj32EiEvPT0_j.kd
    .uniform_work_group_size: 1
    .uses_dynamic_stack: false
    .vgpr_count:     5
    .vgpr_spill_count: 0
    .wavefront_size: 32
    .workgroup_processor_mode: 1
  - .args:
      - .address_space:  global
        .offset:         0
        .size:           8
        .value_kind:     global_buffer
      - .offset:         8
        .size:           4
        .value_kind:     by_value
      - .offset:         16
        .size:           4
        .value_kind:     hidden_block_count_x
      - .offset:         20
        .size:           4
        .value_kind:     hidden_block_count_y
      - .offset:         24
        .size:           4
        .value_kind:     hidden_block_count_z
      - .offset:         28
        .size:           2
        .value_kind:     hidden_group_size_x
      - .offset:         30
        .size:           2
        .value_kind:     hidden_group_size_y
      - .offset:         32
        .size:           2
        .value_kind:     hidden_group_size_z
      - .offset:         34
        .size:           2
        .value_kind:     hidden_remainder_x
      - .offset:         36
        .size:           2
        .value_kind:     hidden_remainder_y
      - .offset:         38
        .size:           2
        .value_kind:     hidden_remainder_z
      - .offset:         56
        .size:           8
        .value_kind:     hidden_global_offset_x
      - .offset:         64
        .size:           8
        .value_kind:     hidden_global_offset_y
      - .offset:         72
        .size:           8
        .value_kind:     hidden_global_offset_z
      - .offset:         80
        .size:           2
        .value_kind:     hidden_grid_dims
    .group_segment_fixed_size: 0
    .kernarg_segment_align: 8
    .kernarg_segment_size: 272
    .language:       OpenCL C
    .language_version:
      - 2
      - 0
    .max_flat_workgroup_size: 1024
    .name:           _Z19shuffle_down_kernelILj64E12hip_bfloat16EvPT0_j
    .private_segment_fixed_size: 0
    .sgpr_count:     18
    .sgpr_spill_count: 0
    .symbol:         _Z19shuffle_down_kernelILj64E12hip_bfloat16EvPT0_j.kd
    .uniform_work_group_size: 1
    .uses_dynamic_stack: false
    .vgpr_count:     5
    .vgpr_spill_count: 0
    .wavefront_size: 32
    .workgroup_processor_mode: 1
  - .args:
      - .address_space:  global
        .offset:         0
        .size:           8
        .value_kind:     global_buffer
      - .offset:         8
        .size:           4
        .value_kind:     by_value
      - .offset:         16
        .size:           4
        .value_kind:     hidden_block_count_x
      - .offset:         20
        .size:           4
        .value_kind:     hidden_block_count_y
      - .offset:         24
        .size:           4
        .value_kind:     hidden_block_count_z
      - .offset:         28
        .size:           2
        .value_kind:     hidden_group_size_x
      - .offset:         30
        .size:           2
        .value_kind:     hidden_group_size_y
      - .offset:         32
        .size:           2
        .value_kind:     hidden_group_size_z
      - .offset:         34
        .size:           2
        .value_kind:     hidden_remainder_x
      - .offset:         36
        .size:           2
        .value_kind:     hidden_remainder_y
      - .offset:         38
        .size:           2
        .value_kind:     hidden_remainder_z
      - .offset:         56
        .size:           8
        .value_kind:     hidden_global_offset_x
      - .offset:         64
        .size:           8
        .value_kind:     hidden_global_offset_y
      - .offset:         72
        .size:           8
        .value_kind:     hidden_global_offset_z
      - .offset:         80
        .size:           2
        .value_kind:     hidden_grid_dims
    .group_segment_fixed_size: 0
    .kernarg_segment_align: 8
    .kernarg_segment_size: 272
    .language:       OpenCL C
    .language_version:
      - 2
      - 0
    .max_flat_workgroup_size: 1024
    .name:           _Z19shuffle_down_kernelILj64E6__halfEvPT0_j
    .private_segment_fixed_size: 0
    .sgpr_count:     18
    .sgpr_spill_count: 0
    .symbol:         _Z19shuffle_down_kernelILj64E6__halfEvPT0_j.kd
    .uniform_work_group_size: 1
    .uses_dynamic_stack: false
    .vgpr_count:     5
    .vgpr_spill_count: 0
    .wavefront_size: 32
    .workgroup_processor_mode: 1
  - .args:
      - .address_space:  global
        .offset:         0
        .size:           8
        .value_kind:     global_buffer
      - .offset:         8
        .size:           4
        .value_kind:     by_value
      - .offset:         16
        .size:           4
        .value_kind:     hidden_block_count_x
      - .offset:         20
        .size:           4
        .value_kind:     hidden_block_count_y
      - .offset:         24
        .size:           4
        .value_kind:     hidden_block_count_z
      - .offset:         28
        .size:           2
        .value_kind:     hidden_group_size_x
      - .offset:         30
        .size:           2
        .value_kind:     hidden_group_size_y
      - .offset:         32
        .size:           2
        .value_kind:     hidden_group_size_z
      - .offset:         34
        .size:           2
        .value_kind:     hidden_remainder_x
      - .offset:         36
        .size:           2
        .value_kind:     hidden_remainder_y
      - .offset:         38
        .size:           2
        .value_kind:     hidden_remainder_z
      - .offset:         56
        .size:           8
        .value_kind:     hidden_global_offset_x
      - .offset:         64
        .size:           8
        .value_kind:     hidden_global_offset_y
      - .offset:         72
        .size:           8
        .value_kind:     hidden_global_offset_z
      - .offset:         80
        .size:           2
        .value_kind:     hidden_grid_dims
    .group_segment_fixed_size: 0
    .kernarg_segment_align: 8
    .kernarg_segment_size: 272
    .language:       OpenCL C
    .language_version:
      - 2
      - 0
    .max_flat_workgroup_size: 1024
    .name:           _Z19shuffle_down_kernelILj64EhEvPT0_j
    .private_segment_fixed_size: 0
    .sgpr_count:     18
    .sgpr_spill_count: 0
    .symbol:         _Z19shuffle_down_kernelILj64EhEvPT0_j.kd
    .uniform_work_group_size: 1
    .uses_dynamic_stack: false
    .vgpr_count:     4
    .vgpr_spill_count: 0
    .wavefront_size: 32
    .workgroup_processor_mode: 1
  - .args:
      - .address_space:  global
        .offset:         0
        .size:           8
        .value_kind:     global_buffer
      - .offset:         8
        .size:           4
        .value_kind:     by_value
      - .offset:         16
        .size:           4
        .value_kind:     hidden_block_count_x
      - .offset:         20
        .size:           4
        .value_kind:     hidden_block_count_y
      - .offset:         24
        .size:           4
        .value_kind:     hidden_block_count_z
      - .offset:         28
        .size:           2
        .value_kind:     hidden_group_size_x
      - .offset:         30
        .size:           2
        .value_kind:     hidden_group_size_y
      - .offset:         32
        .size:           2
        .value_kind:     hidden_group_size_z
      - .offset:         34
        .size:           2
        .value_kind:     hidden_remainder_x
      - .offset:         36
        .size:           2
        .value_kind:     hidden_remainder_y
      - .offset:         38
        .size:           2
        .value_kind:     hidden_remainder_z
      - .offset:         56
        .size:           8
        .value_kind:     hidden_global_offset_x
      - .offset:         64
        .size:           8
        .value_kind:     hidden_global_offset_y
      - .offset:         72
        .size:           8
        .value_kind:     hidden_global_offset_z
      - .offset:         80
        .size:           2
        .value_kind:     hidden_grid_dims
    .group_segment_fixed_size: 0
    .kernarg_segment_align: 8
    .kernarg_segment_size: 272
    .language:       OpenCL C
    .language_version:
      - 2
      - 0
    .max_flat_workgroup_size: 1024
    .name:           _Z19shuffle_down_kernelILj64EdEvPT0_j
    .private_segment_fixed_size: 0
    .sgpr_count:     18
    .sgpr_spill_count: 0
    .symbol:         _Z19shuffle_down_kernelILj64EdEvPT0_j.kd
    .uniform_work_group_size: 1
    .uses_dynamic_stack: false
    .vgpr_count:     6
    .vgpr_spill_count: 0
    .wavefront_size: 32
    .workgroup_processor_mode: 1
  - .args:
      - .address_space:  global
        .offset:         0
        .size:           8
        .value_kind:     global_buffer
      - .offset:         8
        .size:           4
        .value_kind:     by_value
      - .offset:         16
        .size:           4
        .value_kind:     hidden_block_count_x
      - .offset:         20
        .size:           4
        .value_kind:     hidden_block_count_y
      - .offset:         24
        .size:           4
        .value_kind:     hidden_block_count_z
      - .offset:         28
        .size:           2
        .value_kind:     hidden_group_size_x
      - .offset:         30
        .size:           2
        .value_kind:     hidden_group_size_y
      - .offset:         32
        .size:           2
        .value_kind:     hidden_group_size_z
      - .offset:         34
        .size:           2
        .value_kind:     hidden_remainder_x
      - .offset:         36
        .size:           2
        .value_kind:     hidden_remainder_y
      - .offset:         38
        .size:           2
        .value_kind:     hidden_remainder_z
      - .offset:         56
        .size:           8
        .value_kind:     hidden_global_offset_x
      - .offset:         64
        .size:           8
        .value_kind:     hidden_global_offset_y
      - .offset:         72
        .size:           8
        .value_kind:     hidden_global_offset_z
      - .offset:         80
        .size:           2
        .value_kind:     hidden_grid_dims
    .group_segment_fixed_size: 0
    .kernarg_segment_align: 8
    .kernarg_segment_size: 272
    .language:       OpenCL C
    .language_version:
      - 2
      - 0
    .max_flat_workgroup_size: 1024
    .name:           _Z19shuffle_down_kernelILj64EfEvPT0_j
    .private_segment_fixed_size: 0
    .sgpr_count:     18
    .sgpr_spill_count: 0
    .symbol:         _Z19shuffle_down_kernelILj64EfEvPT0_j.kd
    .uniform_work_group_size: 1
    .uses_dynamic_stack: false
    .vgpr_count:     5
    .vgpr_spill_count: 0
    .wavefront_size: 32
    .workgroup_processor_mode: 1
  - .args:
      - .address_space:  global
        .offset:         0
        .size:           8
        .value_kind:     global_buffer
      - .offset:         8
        .size:           4
        .value_kind:     by_value
      - .offset:         16
        .size:           4
        .value_kind:     hidden_block_count_x
      - .offset:         20
        .size:           4
        .value_kind:     hidden_block_count_y
      - .offset:         24
        .size:           4
        .value_kind:     hidden_block_count_z
      - .offset:         28
        .size:           2
        .value_kind:     hidden_group_size_x
      - .offset:         30
        .size:           2
        .value_kind:     hidden_group_size_y
      - .offset:         32
        .size:           2
        .value_kind:     hidden_group_size_z
      - .offset:         34
        .size:           2
        .value_kind:     hidden_remainder_x
      - .offset:         36
        .size:           2
        .value_kind:     hidden_remainder_y
      - .offset:         38
        .size:           2
        .value_kind:     hidden_remainder_z
      - .offset:         56
        .size:           8
        .value_kind:     hidden_global_offset_x
      - .offset:         64
        .size:           8
        .value_kind:     hidden_global_offset_y
      - .offset:         72
        .size:           8
        .value_kind:     hidden_global_offset_z
      - .offset:         80
        .size:           2
        .value_kind:     hidden_grid_dims
    .group_segment_fixed_size: 0
    .kernarg_segment_align: 8
    .kernarg_segment_size: 272
    .language:       OpenCL C
    .language_version:
      - 2
      - 0
    .max_flat_workgroup_size: 1024
    .name:           _Z19shuffle_down_kernelILj32EhEvPT0_j
    .private_segment_fixed_size: 0
    .sgpr_count:     18
    .sgpr_spill_count: 0
    .symbol:         _Z19shuffle_down_kernelILj32EhEvPT0_j.kd
    .uniform_work_group_size: 1
    .uses_dynamic_stack: false
    .vgpr_count:     4
    .vgpr_spill_count: 0
    .wavefront_size: 32
    .workgroup_processor_mode: 1
  - .args:
      - .address_space:  global
        .offset:         0
        .size:           8
        .value_kind:     global_buffer
      - .offset:         8
        .size:           4
        .value_kind:     by_value
      - .offset:         16
        .size:           4
        .value_kind:     hidden_block_count_x
      - .offset:         20
        .size:           4
        .value_kind:     hidden_block_count_y
      - .offset:         24
        .size:           4
        .value_kind:     hidden_block_count_z
      - .offset:         28
        .size:           2
        .value_kind:     hidden_group_size_x
      - .offset:         30
        .size:           2
        .value_kind:     hidden_group_size_y
      - .offset:         32
        .size:           2
        .value_kind:     hidden_group_size_z
      - .offset:         34
        .size:           2
        .value_kind:     hidden_remainder_x
      - .offset:         36
        .size:           2
        .value_kind:     hidden_remainder_y
      - .offset:         38
        .size:           2
        .value_kind:     hidden_remainder_z
      - .offset:         56
        .size:           8
        .value_kind:     hidden_global_offset_x
      - .offset:         64
        .size:           8
        .value_kind:     hidden_global_offset_y
      - .offset:         72
        .size:           8
        .value_kind:     hidden_global_offset_z
      - .offset:         80
        .size:           2
        .value_kind:     hidden_grid_dims
    .group_segment_fixed_size: 0
    .kernarg_segment_align: 8
    .kernarg_segment_size: 272
    .language:       OpenCL C
    .language_version:
      - 2
      - 0
    .max_flat_workgroup_size: 1024
    .name:           _Z19shuffle_down_kernelILj32E12hip_bfloat16EvPT0_j
    .private_segment_fixed_size: 0
    .sgpr_count:     18
    .sgpr_spill_count: 0
    .symbol:         _Z19shuffle_down_kernelILj32E12hip_bfloat16EvPT0_j.kd
    .uniform_work_group_size: 1
    .uses_dynamic_stack: false
    .vgpr_count:     5
    .vgpr_spill_count: 0
    .wavefront_size: 32
    .workgroup_processor_mode: 1
  - .args:
      - .address_space:  global
        .offset:         0
        .size:           8
        .value_kind:     global_buffer
      - .offset:         8
        .size:           4
        .value_kind:     by_value
      - .offset:         16
        .size:           4
        .value_kind:     hidden_block_count_x
      - .offset:         20
        .size:           4
        .value_kind:     hidden_block_count_y
      - .offset:         24
        .size:           4
        .value_kind:     hidden_block_count_z
      - .offset:         28
        .size:           2
        .value_kind:     hidden_group_size_x
      - .offset:         30
        .size:           2
        .value_kind:     hidden_group_size_y
      - .offset:         32
        .size:           2
        .value_kind:     hidden_group_size_z
      - .offset:         34
        .size:           2
        .value_kind:     hidden_remainder_x
      - .offset:         36
        .size:           2
        .value_kind:     hidden_remainder_y
      - .offset:         38
        .size:           2
        .value_kind:     hidden_remainder_z
      - .offset:         56
        .size:           8
        .value_kind:     hidden_global_offset_x
      - .offset:         64
        .size:           8
        .value_kind:     hidden_global_offset_y
      - .offset:         72
        .size:           8
        .value_kind:     hidden_global_offset_z
      - .offset:         80
        .size:           2
        .value_kind:     hidden_grid_dims
    .group_segment_fixed_size: 0
    .kernarg_segment_align: 8
    .kernarg_segment_size: 272
    .language:       OpenCL C
    .language_version:
      - 2
      - 0
    .max_flat_workgroup_size: 1024
    .name:           _Z19shuffle_down_kernelILj32E6__halfEvPT0_j
    .private_segment_fixed_size: 0
    .sgpr_count:     18
    .sgpr_spill_count: 0
    .symbol:         _Z19shuffle_down_kernelILj32E6__halfEvPT0_j.kd
    .uniform_work_group_size: 1
    .uses_dynamic_stack: false
    .vgpr_count:     5
    .vgpr_spill_count: 0
    .wavefront_size: 32
    .workgroup_processor_mode: 1
  - .args:
      - .address_space:  global
        .offset:         0
        .size:           8
        .value_kind:     global_buffer
      - .offset:         8
        .size:           4
        .value_kind:     by_value
      - .offset:         16
        .size:           4
        .value_kind:     hidden_block_count_x
      - .offset:         20
        .size:           4
        .value_kind:     hidden_block_count_y
      - .offset:         24
        .size:           4
        .value_kind:     hidden_block_count_z
      - .offset:         28
        .size:           2
        .value_kind:     hidden_group_size_x
      - .offset:         30
        .size:           2
        .value_kind:     hidden_group_size_y
      - .offset:         32
        .size:           2
        .value_kind:     hidden_group_size_z
      - .offset:         34
        .size:           2
        .value_kind:     hidden_remainder_x
      - .offset:         36
        .size:           2
        .value_kind:     hidden_remainder_y
      - .offset:         38
        .size:           2
        .value_kind:     hidden_remainder_z
      - .offset:         56
        .size:           8
        .value_kind:     hidden_global_offset_x
      - .offset:         64
        .size:           8
        .value_kind:     hidden_global_offset_y
      - .offset:         72
        .size:           8
        .value_kind:     hidden_global_offset_z
      - .offset:         80
        .size:           2
        .value_kind:     hidden_grid_dims
    .group_segment_fixed_size: 0
    .kernarg_segment_align: 8
    .kernarg_segment_size: 272
    .language:       OpenCL C
    .language_version:
      - 2
      - 0
    .max_flat_workgroup_size: 1024
    .name:           _Z19shuffle_down_kernelILj32EdEvPT0_j
    .private_segment_fixed_size: 0
    .sgpr_count:     18
    .sgpr_spill_count: 0
    .symbol:         _Z19shuffle_down_kernelILj32EdEvPT0_j.kd
    .uniform_work_group_size: 1
    .uses_dynamic_stack: false
    .vgpr_count:     6
    .vgpr_spill_count: 0
    .wavefront_size: 32
    .workgroup_processor_mode: 1
  - .args:
      - .address_space:  global
        .offset:         0
        .size:           8
        .value_kind:     global_buffer
      - .offset:         8
        .size:           4
        .value_kind:     by_value
      - .offset:         16
        .size:           4
        .value_kind:     hidden_block_count_x
      - .offset:         20
        .size:           4
        .value_kind:     hidden_block_count_y
      - .offset:         24
        .size:           4
        .value_kind:     hidden_block_count_z
      - .offset:         28
        .size:           2
        .value_kind:     hidden_group_size_x
      - .offset:         30
        .size:           2
        .value_kind:     hidden_group_size_y
      - .offset:         32
        .size:           2
        .value_kind:     hidden_group_size_z
      - .offset:         34
        .size:           2
        .value_kind:     hidden_remainder_x
      - .offset:         36
        .size:           2
        .value_kind:     hidden_remainder_y
      - .offset:         38
        .size:           2
        .value_kind:     hidden_remainder_z
      - .offset:         56
        .size:           8
        .value_kind:     hidden_global_offset_x
      - .offset:         64
        .size:           8
        .value_kind:     hidden_global_offset_y
      - .offset:         72
        .size:           8
        .value_kind:     hidden_global_offset_z
      - .offset:         80
        .size:           2
        .value_kind:     hidden_grid_dims
    .group_segment_fixed_size: 0
    .kernarg_segment_align: 8
    .kernarg_segment_size: 272
    .language:       OpenCL C
    .language_version:
      - 2
      - 0
    .max_flat_workgroup_size: 1024
    .name:           _Z19shuffle_down_kernelILj32EfEvPT0_j
    .private_segment_fixed_size: 0
    .sgpr_count:     18
    .sgpr_spill_count: 0
    .symbol:         _Z19shuffle_down_kernelILj32EfEvPT0_j.kd
    .uniform_work_group_size: 1
    .uses_dynamic_stack: false
    .vgpr_count:     5
    .vgpr_spill_count: 0
    .wavefront_size: 32
    .workgroup_processor_mode: 1
  - .args:
      - .address_space:  global
        .offset:         0
        .size:           8
        .value_kind:     global_buffer
      - .offset:         8
        .size:           4
        .value_kind:     by_value
      - .offset:         16
        .size:           4
        .value_kind:     hidden_block_count_x
      - .offset:         20
        .size:           4
        .value_kind:     hidden_block_count_y
      - .offset:         24
        .size:           4
        .value_kind:     hidden_block_count_z
      - .offset:         28
        .size:           2
        .value_kind:     hidden_group_size_x
      - .offset:         30
        .size:           2
        .value_kind:     hidden_group_size_y
      - .offset:         32
        .size:           2
        .value_kind:     hidden_group_size_z
      - .offset:         34
        .size:           2
        .value_kind:     hidden_remainder_x
      - .offset:         36
        .size:           2
        .value_kind:     hidden_remainder_y
      - .offset:         38
        .size:           2
        .value_kind:     hidden_remainder_z
      - .offset:         56
        .size:           8
        .value_kind:     hidden_global_offset_x
      - .offset:         64
        .size:           8
        .value_kind:     hidden_global_offset_y
      - .offset:         72
        .size:           8
        .value_kind:     hidden_global_offset_z
      - .offset:         80
        .size:           2
        .value_kind:     hidden_grid_dims
    .group_segment_fixed_size: 0
    .kernarg_segment_align: 8
    .kernarg_segment_size: 272
    .language:       OpenCL C
    .language_version:
      - 2
      - 0
    .max_flat_workgroup_size: 1024
    .name:           _Z19shuffle_down_kernelILj2EiEvPT0_j
    .private_segment_fixed_size: 0
    .sgpr_count:     18
    .sgpr_spill_count: 0
    .symbol:         _Z19shuffle_down_kernelILj2EiEvPT0_j.kd
    .uniform_work_group_size: 1
    .uses_dynamic_stack: false
    .vgpr_count:     5
    .vgpr_spill_count: 0
    .wavefront_size: 32
    .workgroup_processor_mode: 1
  - .args:
      - .address_space:  global
        .offset:         0
        .size:           8
        .value_kind:     global_buffer
      - .offset:         8
        .size:           4
        .value_kind:     by_value
      - .offset:         16
        .size:           4
        .value_kind:     hidden_block_count_x
      - .offset:         20
        .size:           4
        .value_kind:     hidden_block_count_y
      - .offset:         24
        .size:           4
        .value_kind:     hidden_block_count_z
      - .offset:         28
        .size:           2
        .value_kind:     hidden_group_size_x
      - .offset:         30
        .size:           2
        .value_kind:     hidden_group_size_y
      - .offset:         32
        .size:           2
        .value_kind:     hidden_group_size_z
      - .offset:         34
        .size:           2
        .value_kind:     hidden_remainder_x
      - .offset:         36
        .size:           2
        .value_kind:     hidden_remainder_y
      - .offset:         38
        .size:           2
        .value_kind:     hidden_remainder_z
      - .offset:         56
        .size:           8
        .value_kind:     hidden_global_offset_x
      - .offset:         64
        .size:           8
        .value_kind:     hidden_global_offset_y
      - .offset:         72
        .size:           8
        .value_kind:     hidden_global_offset_z
      - .offset:         80
        .size:           2
        .value_kind:     hidden_grid_dims
    .group_segment_fixed_size: 0
    .kernarg_segment_align: 8
    .kernarg_segment_size: 272
    .language:       OpenCL C
    .language_version:
      - 2
      - 0
    .max_flat_workgroup_size: 1024
    .name:           _Z19shuffle_down_kernelILj4EiEvPT0_j
    .private_segment_fixed_size: 0
    .sgpr_count:     18
    .sgpr_spill_count: 0
    .symbol:         _Z19shuffle_down_kernelILj4EiEvPT0_j.kd
    .uniform_work_group_size: 1
    .uses_dynamic_stack: false
    .vgpr_count:     5
    .vgpr_spill_count: 0
    .wavefront_size: 32
    .workgroup_processor_mode: 1
  - .args:
      - .address_space:  global
        .offset:         0
        .size:           8
        .value_kind:     global_buffer
      - .offset:         8
        .size:           4
        .value_kind:     by_value
      - .offset:         16
        .size:           4
        .value_kind:     hidden_block_count_x
      - .offset:         20
        .size:           4
        .value_kind:     hidden_block_count_y
      - .offset:         24
        .size:           4
        .value_kind:     hidden_block_count_z
      - .offset:         28
        .size:           2
        .value_kind:     hidden_group_size_x
      - .offset:         30
        .size:           2
        .value_kind:     hidden_group_size_y
      - .offset:         32
        .size:           2
        .value_kind:     hidden_group_size_z
      - .offset:         34
        .size:           2
        .value_kind:     hidden_remainder_x
      - .offset:         36
        .size:           2
        .value_kind:     hidden_remainder_y
      - .offset:         38
        .size:           2
        .value_kind:     hidden_remainder_z
      - .offset:         56
        .size:           8
        .value_kind:     hidden_global_offset_x
      - .offset:         64
        .size:           8
        .value_kind:     hidden_global_offset_y
      - .offset:         72
        .size:           8
        .value_kind:     hidden_global_offset_z
      - .offset:         80
        .size:           2
        .value_kind:     hidden_grid_dims
    .group_segment_fixed_size: 0
    .kernarg_segment_align: 8
    .kernarg_segment_size: 272
    .language:       OpenCL C
    .language_version:
      - 2
      - 0
    .max_flat_workgroup_size: 1024
    .name:           _Z19shuffle_down_kernelILj8EiEvPT0_j
    .private_segment_fixed_size: 0
    .sgpr_count:     18
    .sgpr_spill_count: 0
    .symbol:         _Z19shuffle_down_kernelILj8EiEvPT0_j.kd
    .uniform_work_group_size: 1
    .uses_dynamic_stack: false
    .vgpr_count:     5
    .vgpr_spill_count: 0
    .wavefront_size: 32
    .workgroup_processor_mode: 1
  - .args:
      - .address_space:  global
        .offset:         0
        .size:           8
        .value_kind:     global_buffer
      - .offset:         8
        .size:           4
        .value_kind:     by_value
      - .offset:         16
        .size:           4
        .value_kind:     hidden_block_count_x
      - .offset:         20
        .size:           4
        .value_kind:     hidden_block_count_y
      - .offset:         24
        .size:           4
        .value_kind:     hidden_block_count_z
      - .offset:         28
        .size:           2
        .value_kind:     hidden_group_size_x
      - .offset:         30
        .size:           2
        .value_kind:     hidden_group_size_y
      - .offset:         32
        .size:           2
        .value_kind:     hidden_group_size_z
      - .offset:         34
        .size:           2
        .value_kind:     hidden_remainder_x
      - .offset:         36
        .size:           2
        .value_kind:     hidden_remainder_y
      - .offset:         38
        .size:           2
        .value_kind:     hidden_remainder_z
      - .offset:         56
        .size:           8
        .value_kind:     hidden_global_offset_x
      - .offset:         64
        .size:           8
        .value_kind:     hidden_global_offset_y
      - .offset:         72
        .size:           8
        .value_kind:     hidden_global_offset_z
      - .offset:         80
        .size:           2
        .value_kind:     hidden_grid_dims
    .group_segment_fixed_size: 0
    .kernarg_segment_align: 8
    .kernarg_segment_size: 272
    .language:       OpenCL C
    .language_version:
      - 2
      - 0
    .max_flat_workgroup_size: 1024
    .name:           _Z19shuffle_down_kernelILj16EiEvPT0_j
    .private_segment_fixed_size: 0
    .sgpr_count:     18
    .sgpr_spill_count: 0
    .symbol:         _Z19shuffle_down_kernelILj16EiEvPT0_j.kd
    .uniform_work_group_size: 1
    .uses_dynamic_stack: false
    .vgpr_count:     5
    .vgpr_spill_count: 0
    .wavefront_size: 32
    .workgroup_processor_mode: 1
  - .args:
      - .address_space:  global
        .offset:         0
        .size:           8
        .value_kind:     global_buffer
      - .offset:         8
        .size:           4
        .value_kind:     by_value
      - .offset:         16
        .size:           4
        .value_kind:     hidden_block_count_x
      - .offset:         20
        .size:           4
        .value_kind:     hidden_block_count_y
      - .offset:         24
        .size:           4
        .value_kind:     hidden_block_count_z
      - .offset:         28
        .size:           2
        .value_kind:     hidden_group_size_x
      - .offset:         30
        .size:           2
        .value_kind:     hidden_group_size_y
      - .offset:         32
        .size:           2
        .value_kind:     hidden_group_size_z
      - .offset:         34
        .size:           2
        .value_kind:     hidden_remainder_x
      - .offset:         36
        .size:           2
        .value_kind:     hidden_remainder_y
      - .offset:         38
        .size:           2
        .value_kind:     hidden_remainder_z
      - .offset:         56
        .size:           8
        .value_kind:     hidden_global_offset_x
      - .offset:         64
        .size:           8
        .value_kind:     hidden_global_offset_y
      - .offset:         72
        .size:           8
        .value_kind:     hidden_global_offset_z
      - .offset:         80
        .size:           2
        .value_kind:     hidden_grid_dims
    .group_segment_fixed_size: 0
    .kernarg_segment_align: 8
    .kernarg_segment_size: 272
    .language:       OpenCL C
    .language_version:
      - 2
      - 0
    .max_flat_workgroup_size: 1024
    .name:           _Z19shuffle_down_kernelILj32EiEvPT0_j
    .private_segment_fixed_size: 0
    .sgpr_count:     18
    .sgpr_spill_count: 0
    .symbol:         _Z19shuffle_down_kernelILj32EiEvPT0_j.kd
    .uniform_work_group_size: 1
    .uses_dynamic_stack: false
    .vgpr_count:     5
    .vgpr_spill_count: 0
    .wavefront_size: 32
    .workgroup_processor_mode: 1
  - .args:
      - .address_space:  global
        .offset:         0
        .size:           8
        .value_kind:     global_buffer
      - .address_space:  global
        .offset:         8
        .size:           8
        .value_kind:     global_buffer
      - .offset:         16
        .size:           4
        .value_kind:     hidden_block_count_x
      - .offset:         20
        .size:           4
        .value_kind:     hidden_block_count_y
      - .offset:         24
        .size:           4
        .value_kind:     hidden_block_count_z
      - .offset:         28
        .size:           2
        .value_kind:     hidden_group_size_x
      - .offset:         30
        .size:           2
        .value_kind:     hidden_group_size_y
      - .offset:         32
        .size:           2
        .value_kind:     hidden_group_size_z
      - .offset:         34
        .size:           2
        .value_kind:     hidden_remainder_x
      - .offset:         36
        .size:           2
        .value_kind:     hidden_remainder_y
      - .offset:         38
        .size:           2
        .value_kind:     hidden_remainder_z
      - .offset:         56
        .size:           8
        .value_kind:     hidden_global_offset_x
      - .offset:         64
        .size:           8
        .value_kind:     hidden_global_offset_y
      - .offset:         72
        .size:           8
        .value_kind:     hidden_global_offset_z
      - .offset:         80
        .size:           2
        .value_kind:     hidden_grid_dims
    .group_segment_fixed_size: 0
    .kernarg_segment_align: 8
    .kernarg_segment_size: 272
    .language:       OpenCL C
    .language_version:
      - 2
      - 0
    .max_flat_workgroup_size: 1024
    .name:           _Z20shuffle_index_kernelILj64E12hip_bfloat16EvPT0_Pi
    .private_segment_fixed_size: 0
    .sgpr_count:     18
    .sgpr_spill_count: 0
    .symbol:         _Z20shuffle_index_kernelILj64E12hip_bfloat16EvPT0_Pi.kd
    .uniform_work_group_size: 1
    .uses_dynamic_stack: false
    .vgpr_count:     4
    .vgpr_spill_count: 0
    .wavefront_size: 32
    .workgroup_processor_mode: 1
  - .args:
      - .address_space:  global
        .offset:         0
        .size:           8
        .value_kind:     global_buffer
      - .address_space:  global
        .offset:         8
        .size:           8
        .value_kind:     global_buffer
      - .offset:         16
        .size:           4
        .value_kind:     hidden_block_count_x
      - .offset:         20
        .size:           4
        .value_kind:     hidden_block_count_y
      - .offset:         24
        .size:           4
        .value_kind:     hidden_block_count_z
      - .offset:         28
        .size:           2
        .value_kind:     hidden_group_size_x
      - .offset:         30
        .size:           2
        .value_kind:     hidden_group_size_y
      - .offset:         32
        .size:           2
        .value_kind:     hidden_group_size_z
      - .offset:         34
        .size:           2
        .value_kind:     hidden_remainder_x
      - .offset:         36
        .size:           2
        .value_kind:     hidden_remainder_y
      - .offset:         38
        .size:           2
        .value_kind:     hidden_remainder_z
      - .offset:         56
        .size:           8
        .value_kind:     hidden_global_offset_x
      - .offset:         64
        .size:           8
        .value_kind:     hidden_global_offset_y
      - .offset:         72
        .size:           8
        .value_kind:     hidden_global_offset_z
      - .offset:         80
        .size:           2
        .value_kind:     hidden_grid_dims
    .group_segment_fixed_size: 0
    .kernarg_segment_align: 8
    .kernarg_segment_size: 272
    .language:       OpenCL C
    .language_version:
      - 2
      - 0
    .max_flat_workgroup_size: 1024
    .name:           _Z20shuffle_index_kernelILj64E6__halfEvPT0_Pi
    .private_segment_fixed_size: 0
    .sgpr_count:     18
    .sgpr_spill_count: 0
    .symbol:         _Z20shuffle_index_kernelILj64E6__halfEvPT0_Pi.kd
    .uniform_work_group_size: 1
    .uses_dynamic_stack: false
    .vgpr_count:     4
    .vgpr_spill_count: 0
    .wavefront_size: 32
    .workgroup_processor_mode: 1
  - .args:
      - .address_space:  global
        .offset:         0
        .size:           8
        .value_kind:     global_buffer
      - .address_space:  global
        .offset:         8
        .size:           8
        .value_kind:     global_buffer
      - .offset:         16
        .size:           4
        .value_kind:     hidden_block_count_x
      - .offset:         20
        .size:           4
        .value_kind:     hidden_block_count_y
      - .offset:         24
        .size:           4
        .value_kind:     hidden_block_count_z
      - .offset:         28
        .size:           2
        .value_kind:     hidden_group_size_x
      - .offset:         30
        .size:           2
        .value_kind:     hidden_group_size_y
      - .offset:         32
        .size:           2
        .value_kind:     hidden_group_size_z
      - .offset:         34
        .size:           2
        .value_kind:     hidden_remainder_x
      - .offset:         36
        .size:           2
        .value_kind:     hidden_remainder_y
      - .offset:         38
        .size:           2
        .value_kind:     hidden_remainder_z
      - .offset:         56
        .size:           8
        .value_kind:     hidden_global_offset_x
      - .offset:         64
        .size:           8
        .value_kind:     hidden_global_offset_y
      - .offset:         72
        .size:           8
        .value_kind:     hidden_global_offset_z
      - .offset:         80
        .size:           2
        .value_kind:     hidden_grid_dims
    .group_segment_fixed_size: 0
    .kernarg_segment_align: 8
    .kernarg_segment_size: 272
    .language:       OpenCL C
    .language_version:
      - 2
      - 0
    .max_flat_workgroup_size: 1024
    .name:           _Z20shuffle_index_kernelILj64EhEvPT0_Pi
    .private_segment_fixed_size: 0
    .sgpr_count:     16
    .sgpr_spill_count: 0
    .symbol:         _Z20shuffle_index_kernelILj64EhEvPT0_Pi.kd
    .uniform_work_group_size: 1
    .uses_dynamic_stack: false
    .vgpr_count:     4
    .vgpr_spill_count: 0
    .wavefront_size: 32
    .workgroup_processor_mode: 1
  - .args:
      - .address_space:  global
        .offset:         0
        .size:           8
        .value_kind:     global_buffer
      - .address_space:  global
        .offset:         8
        .size:           8
        .value_kind:     global_buffer
      - .offset:         16
        .size:           4
        .value_kind:     hidden_block_count_x
      - .offset:         20
        .size:           4
        .value_kind:     hidden_block_count_y
      - .offset:         24
        .size:           4
        .value_kind:     hidden_block_count_z
      - .offset:         28
        .size:           2
        .value_kind:     hidden_group_size_x
      - .offset:         30
        .size:           2
        .value_kind:     hidden_group_size_y
      - .offset:         32
        .size:           2
        .value_kind:     hidden_group_size_z
      - .offset:         34
        .size:           2
        .value_kind:     hidden_remainder_x
      - .offset:         36
        .size:           2
        .value_kind:     hidden_remainder_y
      - .offset:         38
        .size:           2
        .value_kind:     hidden_remainder_z
      - .offset:         56
        .size:           8
        .value_kind:     hidden_global_offset_x
      - .offset:         64
        .size:           8
        .value_kind:     hidden_global_offset_y
      - .offset:         72
        .size:           8
        .value_kind:     hidden_global_offset_z
      - .offset:         80
        .size:           2
        .value_kind:     hidden_grid_dims
    .group_segment_fixed_size: 0
    .kernarg_segment_align: 8
    .kernarg_segment_size: 272
    .language:       OpenCL C
    .language_version:
      - 2
      - 0
    .max_flat_workgroup_size: 1024
    .name:           _Z20shuffle_index_kernelILj64EdEvPT0_Pi
    .private_segment_fixed_size: 0
    .sgpr_count:     18
    .sgpr_spill_count: 0
    .symbol:         _Z20shuffle_index_kernelILj64EdEvPT0_Pi.kd
    .uniform_work_group_size: 1
    .uses_dynamic_stack: false
    .vgpr_count:     5
    .vgpr_spill_count: 0
    .wavefront_size: 32
    .workgroup_processor_mode: 1
  - .args:
      - .address_space:  global
        .offset:         0
        .size:           8
        .value_kind:     global_buffer
      - .address_space:  global
        .offset:         8
        .size:           8
        .value_kind:     global_buffer
      - .offset:         16
        .size:           4
        .value_kind:     hidden_block_count_x
      - .offset:         20
        .size:           4
        .value_kind:     hidden_block_count_y
      - .offset:         24
        .size:           4
        .value_kind:     hidden_block_count_z
      - .offset:         28
        .size:           2
        .value_kind:     hidden_group_size_x
      - .offset:         30
        .size:           2
        .value_kind:     hidden_group_size_y
      - .offset:         32
        .size:           2
        .value_kind:     hidden_group_size_z
      - .offset:         34
        .size:           2
        .value_kind:     hidden_remainder_x
      - .offset:         36
        .size:           2
        .value_kind:     hidden_remainder_y
      - .offset:         38
        .size:           2
        .value_kind:     hidden_remainder_z
      - .offset:         56
        .size:           8
        .value_kind:     hidden_global_offset_x
      - .offset:         64
        .size:           8
        .value_kind:     hidden_global_offset_y
      - .offset:         72
        .size:           8
        .value_kind:     hidden_global_offset_z
      - .offset:         80
        .size:           2
        .value_kind:     hidden_grid_dims
    .group_segment_fixed_size: 0
    .kernarg_segment_align: 8
    .kernarg_segment_size: 272
    .language:       OpenCL C
    .language_version:
      - 2
      - 0
    .max_flat_workgroup_size: 1024
    .name:           _Z20shuffle_index_kernelILj64EfEvPT0_Pi
    .private_segment_fixed_size: 0
    .sgpr_count:     18
    .sgpr_spill_count: 0
    .symbol:         _Z20shuffle_index_kernelILj64EfEvPT0_Pi.kd
    .uniform_work_group_size: 1
    .uses_dynamic_stack: false
    .vgpr_count:     4
    .vgpr_spill_count: 0
    .wavefront_size: 32
    .workgroup_processor_mode: 1
  - .args:
      - .address_space:  global
        .offset:         0
        .size:           8
        .value_kind:     global_buffer
      - .address_space:  global
        .offset:         8
        .size:           8
        .value_kind:     global_buffer
      - .offset:         16
        .size:           4
        .value_kind:     hidden_block_count_x
      - .offset:         20
        .size:           4
        .value_kind:     hidden_block_count_y
      - .offset:         24
        .size:           4
        .value_kind:     hidden_block_count_z
      - .offset:         28
        .size:           2
        .value_kind:     hidden_group_size_x
      - .offset:         30
        .size:           2
        .value_kind:     hidden_group_size_y
      - .offset:         32
        .size:           2
        .value_kind:     hidden_group_size_z
      - .offset:         34
        .size:           2
        .value_kind:     hidden_remainder_x
      - .offset:         36
        .size:           2
        .value_kind:     hidden_remainder_y
      - .offset:         38
        .size:           2
        .value_kind:     hidden_remainder_z
      - .offset:         56
        .size:           8
        .value_kind:     hidden_global_offset_x
      - .offset:         64
        .size:           8
        .value_kind:     hidden_global_offset_y
      - .offset:         72
        .size:           8
        .value_kind:     hidden_global_offset_z
      - .offset:         80
        .size:           2
        .value_kind:     hidden_grid_dims
    .group_segment_fixed_size: 0
    .kernarg_segment_align: 8
    .kernarg_segment_size: 272
    .language:       OpenCL C
    .language_version:
      - 2
      - 0
    .max_flat_workgroup_size: 1024
    .name:           _Z20shuffle_index_kernelILj32EhEvPT0_Pi
    .private_segment_fixed_size: 0
    .sgpr_count:     16
    .sgpr_spill_count: 0
    .symbol:         _Z20shuffle_index_kernelILj32EhEvPT0_Pi.kd
    .uniform_work_group_size: 1
    .uses_dynamic_stack: false
    .vgpr_count:     4
    .vgpr_spill_count: 0
    .wavefront_size: 32
    .workgroup_processor_mode: 1
  - .args:
      - .address_space:  global
        .offset:         0
        .size:           8
        .value_kind:     global_buffer
      - .address_space:  global
        .offset:         8
        .size:           8
        .value_kind:     global_buffer
      - .offset:         16
        .size:           4
        .value_kind:     hidden_block_count_x
      - .offset:         20
        .size:           4
        .value_kind:     hidden_block_count_y
      - .offset:         24
        .size:           4
        .value_kind:     hidden_block_count_z
      - .offset:         28
        .size:           2
        .value_kind:     hidden_group_size_x
      - .offset:         30
        .size:           2
        .value_kind:     hidden_group_size_y
      - .offset:         32
        .size:           2
        .value_kind:     hidden_group_size_z
      - .offset:         34
        .size:           2
        .value_kind:     hidden_remainder_x
      - .offset:         36
        .size:           2
        .value_kind:     hidden_remainder_y
      - .offset:         38
        .size:           2
        .value_kind:     hidden_remainder_z
      - .offset:         56
        .size:           8
        .value_kind:     hidden_global_offset_x
      - .offset:         64
        .size:           8
        .value_kind:     hidden_global_offset_y
      - .offset:         72
        .size:           8
        .value_kind:     hidden_global_offset_z
      - .offset:         80
        .size:           2
        .value_kind:     hidden_grid_dims
    .group_segment_fixed_size: 0
    .kernarg_segment_align: 8
    .kernarg_segment_size: 272
    .language:       OpenCL C
    .language_version:
      - 2
      - 0
    .max_flat_workgroup_size: 1024
    .name:           _Z20shuffle_index_kernelILj32E12hip_bfloat16EvPT0_Pi
    .private_segment_fixed_size: 0
    .sgpr_count:     18
    .sgpr_spill_count: 0
    .symbol:         _Z20shuffle_index_kernelILj32E12hip_bfloat16EvPT0_Pi.kd
    .uniform_work_group_size: 1
    .uses_dynamic_stack: false
    .vgpr_count:     4
    .vgpr_spill_count: 0
    .wavefront_size: 32
    .workgroup_processor_mode: 1
  - .args:
      - .address_space:  global
        .offset:         0
        .size:           8
        .value_kind:     global_buffer
      - .address_space:  global
        .offset:         8
        .size:           8
        .value_kind:     global_buffer
      - .offset:         16
        .size:           4
        .value_kind:     hidden_block_count_x
      - .offset:         20
        .size:           4
        .value_kind:     hidden_block_count_y
      - .offset:         24
        .size:           4
        .value_kind:     hidden_block_count_z
      - .offset:         28
        .size:           2
        .value_kind:     hidden_group_size_x
      - .offset:         30
        .size:           2
        .value_kind:     hidden_group_size_y
      - .offset:         32
        .size:           2
        .value_kind:     hidden_group_size_z
      - .offset:         34
        .size:           2
        .value_kind:     hidden_remainder_x
      - .offset:         36
        .size:           2
        .value_kind:     hidden_remainder_y
      - .offset:         38
        .size:           2
        .value_kind:     hidden_remainder_z
      - .offset:         56
        .size:           8
        .value_kind:     hidden_global_offset_x
      - .offset:         64
        .size:           8
        .value_kind:     hidden_global_offset_y
      - .offset:         72
        .size:           8
        .value_kind:     hidden_global_offset_z
      - .offset:         80
        .size:           2
        .value_kind:     hidden_grid_dims
    .group_segment_fixed_size: 0
    .kernarg_segment_align: 8
    .kernarg_segment_size: 272
    .language:       OpenCL C
    .language_version:
      - 2
      - 0
    .max_flat_workgroup_size: 1024
    .name:           _Z20shuffle_index_kernelILj32E6__halfEvPT0_Pi
    .private_segment_fixed_size: 0
    .sgpr_count:     18
    .sgpr_spill_count: 0
    .symbol:         _Z20shuffle_index_kernelILj32E6__halfEvPT0_Pi.kd
    .uniform_work_group_size: 1
    .uses_dynamic_stack: false
    .vgpr_count:     4
    .vgpr_spill_count: 0
    .wavefront_size: 32
    .workgroup_processor_mode: 1
  - .args:
      - .address_space:  global
        .offset:         0
        .size:           8
        .value_kind:     global_buffer
      - .address_space:  global
        .offset:         8
        .size:           8
        .value_kind:     global_buffer
      - .offset:         16
        .size:           4
        .value_kind:     hidden_block_count_x
      - .offset:         20
        .size:           4
        .value_kind:     hidden_block_count_y
      - .offset:         24
        .size:           4
        .value_kind:     hidden_block_count_z
      - .offset:         28
        .size:           2
        .value_kind:     hidden_group_size_x
      - .offset:         30
        .size:           2
        .value_kind:     hidden_group_size_y
      - .offset:         32
        .size:           2
        .value_kind:     hidden_group_size_z
      - .offset:         34
        .size:           2
        .value_kind:     hidden_remainder_x
      - .offset:         36
        .size:           2
        .value_kind:     hidden_remainder_y
      - .offset:         38
        .size:           2
        .value_kind:     hidden_remainder_z
      - .offset:         56
        .size:           8
        .value_kind:     hidden_global_offset_x
      - .offset:         64
        .size:           8
        .value_kind:     hidden_global_offset_y
      - .offset:         72
        .size:           8
        .value_kind:     hidden_global_offset_z
      - .offset:         80
        .size:           2
        .value_kind:     hidden_grid_dims
    .group_segment_fixed_size: 0
    .kernarg_segment_align: 8
    .kernarg_segment_size: 272
    .language:       OpenCL C
    .language_version:
      - 2
      - 0
    .max_flat_workgroup_size: 1024
    .name:           _Z20shuffle_index_kernelILj32EdEvPT0_Pi
    .private_segment_fixed_size: 0
    .sgpr_count:     18
    .sgpr_spill_count: 0
    .symbol:         _Z20shuffle_index_kernelILj32EdEvPT0_Pi.kd
    .uniform_work_group_size: 1
    .uses_dynamic_stack: false
    .vgpr_count:     5
    .vgpr_spill_count: 0
    .wavefront_size: 32
    .workgroup_processor_mode: 1
  - .args:
      - .address_space:  global
        .offset:         0
        .size:           8
        .value_kind:     global_buffer
      - .address_space:  global
        .offset:         8
        .size:           8
        .value_kind:     global_buffer
      - .offset:         16
        .size:           4
        .value_kind:     hidden_block_count_x
      - .offset:         20
        .size:           4
        .value_kind:     hidden_block_count_y
      - .offset:         24
        .size:           4
        .value_kind:     hidden_block_count_z
      - .offset:         28
        .size:           2
        .value_kind:     hidden_group_size_x
      - .offset:         30
        .size:           2
        .value_kind:     hidden_group_size_y
      - .offset:         32
        .size:           2
        .value_kind:     hidden_group_size_z
      - .offset:         34
        .size:           2
        .value_kind:     hidden_remainder_x
      - .offset:         36
        .size:           2
        .value_kind:     hidden_remainder_y
      - .offset:         38
        .size:           2
        .value_kind:     hidden_remainder_z
      - .offset:         56
        .size:           8
        .value_kind:     hidden_global_offset_x
      - .offset:         64
        .size:           8
        .value_kind:     hidden_global_offset_y
      - .offset:         72
        .size:           8
        .value_kind:     hidden_global_offset_z
      - .offset:         80
        .size:           2
        .value_kind:     hidden_grid_dims
    .group_segment_fixed_size: 0
    .kernarg_segment_align: 8
    .kernarg_segment_size: 272
    .language:       OpenCL C
    .language_version:
      - 2
      - 0
    .max_flat_workgroup_size: 1024
    .name:           _Z20shuffle_index_kernelILj32EfEvPT0_Pi
    .private_segment_fixed_size: 0
    .sgpr_count:     18
    .sgpr_spill_count: 0
    .symbol:         _Z20shuffle_index_kernelILj32EfEvPT0_Pi.kd
    .uniform_work_group_size: 1
    .uses_dynamic_stack: false
    .vgpr_count:     4
    .vgpr_spill_count: 0
    .wavefront_size: 32
    .workgroup_processor_mode: 1
  - .args:
      - .address_space:  global
        .offset:         0
        .size:           8
        .value_kind:     global_buffer
      - .address_space:  global
        .offset:         8
        .size:           8
        .value_kind:     global_buffer
      - .offset:         16
        .size:           4
        .value_kind:     hidden_block_count_x
      - .offset:         20
        .size:           4
        .value_kind:     hidden_block_count_y
      - .offset:         24
        .size:           4
        .value_kind:     hidden_block_count_z
      - .offset:         28
        .size:           2
        .value_kind:     hidden_group_size_x
      - .offset:         30
        .size:           2
        .value_kind:     hidden_group_size_y
      - .offset:         32
        .size:           2
        .value_kind:     hidden_group_size_z
      - .offset:         34
        .size:           2
        .value_kind:     hidden_remainder_x
      - .offset:         36
        .size:           2
        .value_kind:     hidden_remainder_y
      - .offset:         38
        .size:           2
        .value_kind:     hidden_remainder_z
      - .offset:         56
        .size:           8
        .value_kind:     hidden_global_offset_x
      - .offset:         64
        .size:           8
        .value_kind:     hidden_global_offset_y
      - .offset:         72
        .size:           8
        .value_kind:     hidden_global_offset_z
      - .offset:         80
        .size:           2
        .value_kind:     hidden_grid_dims
    .group_segment_fixed_size: 0
    .kernarg_segment_align: 8
    .kernarg_segment_size: 272
    .language:       OpenCL C
    .language_version:
      - 2
      - 0
    .max_flat_workgroup_size: 1024
    .name:           _Z20shuffle_index_kernelILj2EiEvPT0_Pi
    .private_segment_fixed_size: 0
    .sgpr_count:     18
    .sgpr_spill_count: 0
    .symbol:         _Z20shuffle_index_kernelILj2EiEvPT0_Pi.kd
    .uniform_work_group_size: 1
    .uses_dynamic_stack: false
    .vgpr_count:     5
    .vgpr_spill_count: 0
    .wavefront_size: 32
    .workgroup_processor_mode: 1
  - .args:
      - .address_space:  global
        .offset:         0
        .size:           8
        .value_kind:     global_buffer
      - .address_space:  global
        .offset:         8
        .size:           8
        .value_kind:     global_buffer
      - .offset:         16
        .size:           4
        .value_kind:     hidden_block_count_x
      - .offset:         20
        .size:           4
        .value_kind:     hidden_block_count_y
      - .offset:         24
        .size:           4
        .value_kind:     hidden_block_count_z
      - .offset:         28
        .size:           2
        .value_kind:     hidden_group_size_x
      - .offset:         30
        .size:           2
        .value_kind:     hidden_group_size_y
      - .offset:         32
        .size:           2
        .value_kind:     hidden_group_size_z
      - .offset:         34
        .size:           2
        .value_kind:     hidden_remainder_x
      - .offset:         36
        .size:           2
        .value_kind:     hidden_remainder_y
      - .offset:         38
        .size:           2
        .value_kind:     hidden_remainder_z
      - .offset:         56
        .size:           8
        .value_kind:     hidden_global_offset_x
      - .offset:         64
        .size:           8
        .value_kind:     hidden_global_offset_y
      - .offset:         72
        .size:           8
        .value_kind:     hidden_global_offset_z
      - .offset:         80
        .size:           2
        .value_kind:     hidden_grid_dims
    .group_segment_fixed_size: 0
    .kernarg_segment_align: 8
    .kernarg_segment_size: 272
    .language:       OpenCL C
    .language_version:
      - 2
      - 0
    .max_flat_workgroup_size: 1024
    .name:           _Z20shuffle_index_kernelILj4EiEvPT0_Pi
    .private_segment_fixed_size: 0
    .sgpr_count:     18
    .sgpr_spill_count: 0
    .symbol:         _Z20shuffle_index_kernelILj4EiEvPT0_Pi.kd
    .uniform_work_group_size: 1
    .uses_dynamic_stack: false
    .vgpr_count:     5
    .vgpr_spill_count: 0
    .wavefront_size: 32
    .workgroup_processor_mode: 1
  - .args:
      - .address_space:  global
        .offset:         0
        .size:           8
        .value_kind:     global_buffer
      - .address_space:  global
        .offset:         8
        .size:           8
        .value_kind:     global_buffer
      - .offset:         16
        .size:           4
        .value_kind:     hidden_block_count_x
      - .offset:         20
        .size:           4
        .value_kind:     hidden_block_count_y
      - .offset:         24
        .size:           4
        .value_kind:     hidden_block_count_z
      - .offset:         28
        .size:           2
        .value_kind:     hidden_group_size_x
      - .offset:         30
        .size:           2
        .value_kind:     hidden_group_size_y
      - .offset:         32
        .size:           2
        .value_kind:     hidden_group_size_z
      - .offset:         34
        .size:           2
        .value_kind:     hidden_remainder_x
      - .offset:         36
        .size:           2
        .value_kind:     hidden_remainder_y
      - .offset:         38
        .size:           2
        .value_kind:     hidden_remainder_z
      - .offset:         56
        .size:           8
        .value_kind:     hidden_global_offset_x
      - .offset:         64
        .size:           8
        .value_kind:     hidden_global_offset_y
      - .offset:         72
        .size:           8
        .value_kind:     hidden_global_offset_z
      - .offset:         80
        .size:           2
        .value_kind:     hidden_grid_dims
    .group_segment_fixed_size: 0
    .kernarg_segment_align: 8
    .kernarg_segment_size: 272
    .language:       OpenCL C
    .language_version:
      - 2
      - 0
    .max_flat_workgroup_size: 1024
    .name:           _Z20shuffle_index_kernelILj8EiEvPT0_Pi
    .private_segment_fixed_size: 0
    .sgpr_count:     18
    .sgpr_spill_count: 0
    .symbol:         _Z20shuffle_index_kernelILj8EiEvPT0_Pi.kd
    .uniform_work_group_size: 1
    .uses_dynamic_stack: false
    .vgpr_count:     5
    .vgpr_spill_count: 0
    .wavefront_size: 32
    .workgroup_processor_mode: 1
  - .args:
      - .address_space:  global
        .offset:         0
        .size:           8
        .value_kind:     global_buffer
      - .address_space:  global
        .offset:         8
        .size:           8
        .value_kind:     global_buffer
      - .offset:         16
        .size:           4
        .value_kind:     hidden_block_count_x
      - .offset:         20
        .size:           4
        .value_kind:     hidden_block_count_y
      - .offset:         24
        .size:           4
        .value_kind:     hidden_block_count_z
      - .offset:         28
        .size:           2
        .value_kind:     hidden_group_size_x
      - .offset:         30
        .size:           2
        .value_kind:     hidden_group_size_y
      - .offset:         32
        .size:           2
        .value_kind:     hidden_group_size_z
      - .offset:         34
        .size:           2
        .value_kind:     hidden_remainder_x
      - .offset:         36
        .size:           2
        .value_kind:     hidden_remainder_y
      - .offset:         38
        .size:           2
        .value_kind:     hidden_remainder_z
      - .offset:         56
        .size:           8
        .value_kind:     hidden_global_offset_x
      - .offset:         64
        .size:           8
        .value_kind:     hidden_global_offset_y
      - .offset:         72
        .size:           8
        .value_kind:     hidden_global_offset_z
      - .offset:         80
        .size:           2
        .value_kind:     hidden_grid_dims
    .group_segment_fixed_size: 0
    .kernarg_segment_align: 8
    .kernarg_segment_size: 272
    .language:       OpenCL C
    .language_version:
      - 2
      - 0
    .max_flat_workgroup_size: 1024
    .name:           _Z20shuffle_index_kernelILj16EiEvPT0_Pi
    .private_segment_fixed_size: 0
    .sgpr_count:     18
    .sgpr_spill_count: 0
    .symbol:         _Z20shuffle_index_kernelILj16EiEvPT0_Pi.kd
    .uniform_work_group_size: 1
    .uses_dynamic_stack: false
    .vgpr_count:     5
    .vgpr_spill_count: 0
    .wavefront_size: 32
    .workgroup_processor_mode: 1
  - .args:
      - .address_space:  global
        .offset:         0
        .size:           8
        .value_kind:     global_buffer
      - .address_space:  global
        .offset:         8
        .size:           8
        .value_kind:     global_buffer
      - .offset:         16
        .size:           4
        .value_kind:     hidden_block_count_x
      - .offset:         20
        .size:           4
        .value_kind:     hidden_block_count_y
      - .offset:         24
        .size:           4
        .value_kind:     hidden_block_count_z
      - .offset:         28
        .size:           2
        .value_kind:     hidden_group_size_x
      - .offset:         30
        .size:           2
        .value_kind:     hidden_group_size_y
      - .offset:         32
        .size:           2
        .value_kind:     hidden_group_size_z
      - .offset:         34
        .size:           2
        .value_kind:     hidden_remainder_x
      - .offset:         36
        .size:           2
        .value_kind:     hidden_remainder_y
      - .offset:         38
        .size:           2
        .value_kind:     hidden_remainder_z
      - .offset:         56
        .size:           8
        .value_kind:     hidden_global_offset_x
      - .offset:         64
        .size:           8
        .value_kind:     hidden_global_offset_y
      - .offset:         72
        .size:           8
        .value_kind:     hidden_global_offset_z
      - .offset:         80
        .size:           2
        .value_kind:     hidden_grid_dims
    .group_segment_fixed_size: 0
    .kernarg_segment_align: 8
    .kernarg_segment_size: 272
    .language:       OpenCL C
    .language_version:
      - 2
      - 0
    .max_flat_workgroup_size: 1024
    .name:           _Z20shuffle_index_kernelILj32EiEvPT0_Pi
    .private_segment_fixed_size: 0
    .sgpr_count:     18
    .sgpr_spill_count: 0
    .symbol:         _Z20shuffle_index_kernelILj32EiEvPT0_Pi.kd
    .uniform_work_group_size: 1
    .uses_dynamic_stack: false
    .vgpr_count:     4
    .vgpr_spill_count: 0
    .wavefront_size: 32
    .workgroup_processor_mode: 1
  - .args:
      - .address_space:  global
        .offset:         0
        .size:           8
        .value_kind:     global_buffer
      - .offset:         8
        .size:           4
        .value_kind:     by_value
      - .offset:         16
        .size:           4
        .value_kind:     hidden_block_count_x
      - .offset:         20
        .size:           4
        .value_kind:     hidden_block_count_y
      - .offset:         24
        .size:           4
        .value_kind:     hidden_block_count_z
      - .offset:         28
        .size:           2
        .value_kind:     hidden_group_size_x
      - .offset:         30
        .size:           2
        .value_kind:     hidden_group_size_y
      - .offset:         32
        .size:           2
        .value_kind:     hidden_group_size_z
      - .offset:         34
        .size:           2
        .value_kind:     hidden_remainder_x
      - .offset:         36
        .size:           2
        .value_kind:     hidden_remainder_y
      - .offset:         38
        .size:           2
        .value_kind:     hidden_remainder_z
      - .offset:         56
        .size:           8
        .value_kind:     hidden_global_offset_x
      - .offset:         64
        .size:           8
        .value_kind:     hidden_global_offset_y
      - .offset:         72
        .size:           8
        .value_kind:     hidden_global_offset_z
      - .offset:         80
        .size:           2
        .value_kind:     hidden_grid_dims
    .group_segment_fixed_size: 0
    .kernarg_segment_align: 8
    .kernarg_segment_size: 272
    .language:       OpenCL C
    .language_version:
      - 2
      - 0
    .max_flat_workgroup_size: 1024
    .name:           _Z17shuffle_up_kernelILj32E17custom_notalignedEvPT0_j
    .private_segment_fixed_size: 0
    .sgpr_count:     18
    .sgpr_spill_count: 0
    .symbol:         _Z17shuffle_up_kernelILj32E17custom_notalignedEvPT0_j.kd
    .uniform_work_group_size: 1
    .uses_dynamic_stack: false
    .vgpr_count:     10
    .vgpr_spill_count: 0
    .wavefront_size: 32
    .workgroup_processor_mode: 1
  - .args:
      - .address_space:  global
        .offset:         0
        .size:           8
        .value_kind:     global_buffer
      - .offset:         8
        .size:           4
        .value_kind:     by_value
      - .offset:         16
        .size:           4
        .value_kind:     hidden_block_count_x
      - .offset:         20
        .size:           4
        .value_kind:     hidden_block_count_y
      - .offset:         24
        .size:           4
        .value_kind:     hidden_block_count_z
      - .offset:         28
        .size:           2
        .value_kind:     hidden_group_size_x
      - .offset:         30
        .size:           2
        .value_kind:     hidden_group_size_y
      - .offset:         32
        .size:           2
        .value_kind:     hidden_group_size_z
      - .offset:         34
        .size:           2
        .value_kind:     hidden_remainder_x
      - .offset:         36
        .size:           2
        .value_kind:     hidden_remainder_y
      - .offset:         38
        .size:           2
        .value_kind:     hidden_remainder_z
      - .offset:         56
        .size:           8
        .value_kind:     hidden_global_offset_x
      - .offset:         64
        .size:           8
        .value_kind:     hidden_global_offset_y
      - .offset:         72
        .size:           8
        .value_kind:     hidden_global_offset_z
      - .offset:         80
        .size:           2
        .value_kind:     hidden_grid_dims
    .group_segment_fixed_size: 0
    .kernarg_segment_align: 8
    .kernarg_segment_size: 272
    .language:       OpenCL C
    .language_version:
      - 2
      - 0
    .max_flat_workgroup_size: 1024
    .name:           _Z17shuffle_up_kernelILj64E17custom_notalignedEvPT0_j
    .private_segment_fixed_size: 0
    .sgpr_count:     18
    .sgpr_spill_count: 0
    .symbol:         _Z17shuffle_up_kernelILj64E17custom_notalignedEvPT0_j.kd
    .uniform_work_group_size: 1
    .uses_dynamic_stack: false
    .vgpr_count:     10
    .vgpr_spill_count: 0
    .wavefront_size: 32
    .workgroup_processor_mode: 1
  - .args:
      - .address_space:  global
        .offset:         0
        .size:           8
        .value_kind:     global_buffer
      - .offset:         8
        .size:           4
        .value_kind:     by_value
      - .offset:         16
        .size:           4
        .value_kind:     hidden_block_count_x
      - .offset:         20
        .size:           4
        .value_kind:     hidden_block_count_y
      - .offset:         24
        .size:           4
        .value_kind:     hidden_block_count_z
      - .offset:         28
        .size:           2
        .value_kind:     hidden_group_size_x
      - .offset:         30
        .size:           2
        .value_kind:     hidden_group_size_y
      - .offset:         32
        .size:           2
        .value_kind:     hidden_group_size_z
      - .offset:         34
        .size:           2
        .value_kind:     hidden_remainder_x
      - .offset:         36
        .size:           2
        .value_kind:     hidden_remainder_y
      - .offset:         38
        .size:           2
        .value_kind:     hidden_remainder_z
      - .offset:         56
        .size:           8
        .value_kind:     hidden_global_offset_x
      - .offset:         64
        .size:           8
        .value_kind:     hidden_global_offset_y
      - .offset:         72
        .size:           8
        .value_kind:     hidden_global_offset_z
      - .offset:         80
        .size:           2
        .value_kind:     hidden_grid_dims
    .group_segment_fixed_size: 0
    .kernarg_segment_align: 8
    .kernarg_segment_size: 272
    .language:       OpenCL C
    .language_version:
      - 2
      - 0
    .max_flat_workgroup_size: 1024
    .name:           _Z17shuffle_up_kernelILj32E16custom_16alignedEvPT0_j
    .private_segment_fixed_size: 0
    .sgpr_count:     18
    .sgpr_spill_count: 0
    .symbol:         _Z17shuffle_up_kernelILj32E16custom_16alignedEvPT0_j.kd
    .uniform_work_group_size: 1
    .uses_dynamic_stack: false
    .vgpr_count:     7
    .vgpr_spill_count: 0
    .wavefront_size: 32
    .workgroup_processor_mode: 1
  - .args:
      - .address_space:  global
        .offset:         0
        .size:           8
        .value_kind:     global_buffer
      - .offset:         8
        .size:           4
        .value_kind:     by_value
      - .offset:         16
        .size:           4
        .value_kind:     hidden_block_count_x
      - .offset:         20
        .size:           4
        .value_kind:     hidden_block_count_y
      - .offset:         24
        .size:           4
        .value_kind:     hidden_block_count_z
      - .offset:         28
        .size:           2
        .value_kind:     hidden_group_size_x
      - .offset:         30
        .size:           2
        .value_kind:     hidden_group_size_y
      - .offset:         32
        .size:           2
        .value_kind:     hidden_group_size_z
      - .offset:         34
        .size:           2
        .value_kind:     hidden_remainder_x
      - .offset:         36
        .size:           2
        .value_kind:     hidden_remainder_y
      - .offset:         38
        .size:           2
        .value_kind:     hidden_remainder_z
      - .offset:         56
        .size:           8
        .value_kind:     hidden_global_offset_x
      - .offset:         64
        .size:           8
        .value_kind:     hidden_global_offset_y
      - .offset:         72
        .size:           8
        .value_kind:     hidden_global_offset_z
      - .offset:         80
        .size:           2
        .value_kind:     hidden_grid_dims
    .group_segment_fixed_size: 0
    .kernarg_segment_align: 8
    .kernarg_segment_size: 272
    .language:       OpenCL C
    .language_version:
      - 2
      - 0
    .max_flat_workgroup_size: 1024
    .name:           _Z17shuffle_up_kernelILj64E16custom_16alignedEvPT0_j
    .private_segment_fixed_size: 0
    .sgpr_count:     18
    .sgpr_spill_count: 0
    .symbol:         _Z17shuffle_up_kernelILj64E16custom_16alignedEvPT0_j.kd
    .uniform_work_group_size: 1
    .uses_dynamic_stack: false
    .vgpr_count:     7
    .vgpr_spill_count: 0
    .wavefront_size: 32
    .workgroup_processor_mode: 1
  - .args:
      - .address_space:  global
        .offset:         0
        .size:           8
        .value_kind:     global_buffer
    .group_segment_fixed_size: 0
    .kernarg_segment_align: 8
    .kernarg_segment_size: 8
    .language:       OpenCL C
    .language_version:
      - 2
      - 0
    .max_flat_workgroup_size: 1024
    .name:           _Z21device_test_warp_maskILj1EEvP10TestStatus
    .private_segment_fixed_size: 0
    .sgpr_count:     13
    .sgpr_spill_count: 0
    .symbol:         _Z21device_test_warp_maskILj1EEvP10TestStatus.kd
    .uniform_work_group_size: 1
    .uses_dynamic_stack: false
    .vgpr_count:     8
    .vgpr_spill_count: 0
    .wavefront_size: 32
    .workgroup_processor_mode: 1
  - .args:
      - .address_space:  global
        .offset:         0
        .size:           8
        .value_kind:     global_buffer
    .group_segment_fixed_size: 0
    .kernarg_segment_align: 8
    .kernarg_segment_size: 8
    .language:       OpenCL C
    .language_version:
      - 2
      - 0
    .max_flat_workgroup_size: 1024
    .name:           _Z21device_test_warp_maskILj2EEvP10TestStatus
    .private_segment_fixed_size: 0
    .sgpr_count:     13
    .sgpr_spill_count: 0
    .symbol:         _Z21device_test_warp_maskILj2EEvP10TestStatus.kd
    .uniform_work_group_size: 1
    .uses_dynamic_stack: false
    .vgpr_count:     9
    .vgpr_spill_count: 0
    .wavefront_size: 32
    .workgroup_processor_mode: 1
  - .args:
      - .address_space:  global
        .offset:         0
        .size:           8
        .value_kind:     global_buffer
    .group_segment_fixed_size: 0
    .kernarg_segment_align: 8
    .kernarg_segment_size: 8
    .language:       OpenCL C
    .language_version:
      - 2
      - 0
    .max_flat_workgroup_size: 1024
    .name:           _Z21device_test_warp_maskILj3EEvP10TestStatus
    .private_segment_fixed_size: 0
    .sgpr_count:     31
    .sgpr_spill_count: 0
    .symbol:         _Z21device_test_warp_maskILj3EEvP10TestStatus.kd
    .uniform_work_group_size: 1
    .uses_dynamic_stack: false
    .vgpr_count:     2
    .vgpr_spill_count: 0
    .wavefront_size: 32
    .workgroup_processor_mode: 1
  - .args:
      - .address_space:  global
        .offset:         0
        .size:           8
        .value_kind:     global_buffer
    .group_segment_fixed_size: 0
    .kernarg_segment_align: 8
    .kernarg_segment_size: 8
    .language:       OpenCL C
    .language_version:
      - 2
      - 0
    .max_flat_workgroup_size: 1024
    .name:           _Z21device_test_warp_maskILj4EEvP10TestStatus
    .private_segment_fixed_size: 0
    .sgpr_count:     13
    .sgpr_spill_count: 0
    .symbol:         _Z21device_test_warp_maskILj4EEvP10TestStatus.kd
    .uniform_work_group_size: 1
    .uses_dynamic_stack: false
    .vgpr_count:     9
    .vgpr_spill_count: 0
    .wavefront_size: 32
    .workgroup_processor_mode: 1
  - .args:
      - .address_space:  global
        .offset:         0
        .size:           8
        .value_kind:     global_buffer
    .group_segment_fixed_size: 0
    .kernarg_segment_align: 8
    .kernarg_segment_size: 8
    .language:       OpenCL C
    .language_version:
      - 2
      - 0
    .max_flat_workgroup_size: 1024
    .name:           _Z21device_test_warp_maskILj5EEvP10TestStatus
    .private_segment_fixed_size: 0
    .sgpr_count:     31
    .sgpr_spill_count: 0
    .symbol:         _Z21device_test_warp_maskILj5EEvP10TestStatus.kd
    .uniform_work_group_size: 1
    .uses_dynamic_stack: false
    .vgpr_count:     2
    .vgpr_spill_count: 0
    .wavefront_size: 32
    .workgroup_processor_mode: 1
  - .args:
      - .address_space:  global
        .offset:         0
        .size:           8
        .value_kind:     global_buffer
    .group_segment_fixed_size: 0
    .kernarg_segment_align: 8
    .kernarg_segment_size: 8
    .language:       OpenCL C
    .language_version:
      - 2
      - 0
    .max_flat_workgroup_size: 1024
    .name:           _Z21device_test_warp_maskILj6EEvP10TestStatus
    .private_segment_fixed_size: 0
    .sgpr_count:     13
    .sgpr_spill_count: 0
    .symbol:         _Z21device_test_warp_maskILj6EEvP10TestStatus.kd
    .uniform_work_group_size: 1
    .uses_dynamic_stack: false
    .vgpr_count:     2
    .vgpr_spill_count: 0
    .wavefront_size: 32
    .workgroup_processor_mode: 1
  - .args:
      - .address_space:  global
        .offset:         0
        .size:           8
        .value_kind:     global_buffer
    .group_segment_fixed_size: 0
    .kernarg_segment_align: 8
    .kernarg_segment_size: 8
    .language:       OpenCL C
    .language_version:
      - 2
      - 0
    .max_flat_workgroup_size: 1024
    .name:           _Z21device_test_warp_maskILj7EEvP10TestStatus
    .private_segment_fixed_size: 0
    .sgpr_count:     18
    .sgpr_spill_count: 0
    .symbol:         _Z21device_test_warp_maskILj7EEvP10TestStatus.kd
    .uniform_work_group_size: 1
    .uses_dynamic_stack: false
    .vgpr_count:     2
    .vgpr_spill_count: 0
    .wavefront_size: 32
    .workgroup_processor_mode: 1
  - .args:
      - .address_space:  global
        .offset:         0
        .size:           8
        .value_kind:     global_buffer
    .group_segment_fixed_size: 0
    .kernarg_segment_align: 8
    .kernarg_segment_size: 8
    .language:       OpenCL C
    .language_version:
      - 2
      - 0
    .max_flat_workgroup_size: 1024
    .name:           _Z21device_test_warp_maskILj8EEvP10TestStatus
    .private_segment_fixed_size: 0
    .sgpr_count:     14
    .sgpr_spill_count: 0
    .symbol:         _Z21device_test_warp_maskILj8EEvP10TestStatus.kd
    .uniform_work_group_size: 1
    .uses_dynamic_stack: false
    .vgpr_count:     9
    .vgpr_spill_count: 0
    .wavefront_size: 32
    .workgroup_processor_mode: 1
  - .args:
      - .address_space:  global
        .offset:         0
        .size:           8
        .value_kind:     global_buffer
    .group_segment_fixed_size: 0
    .kernarg_segment_align: 8
    .kernarg_segment_size: 8
    .language:       OpenCL C
    .language_version:
      - 2
      - 0
    .max_flat_workgroup_size: 1024
    .name:           _Z21device_test_warp_maskILj9EEvP10TestStatus
    .private_segment_fixed_size: 0
    .sgpr_count:     43
    .sgpr_spill_count: 0
    .symbol:         _Z21device_test_warp_maskILj9EEvP10TestStatus.kd
    .uniform_work_group_size: 1
    .uses_dynamic_stack: false
    .vgpr_count:     2
    .vgpr_spill_count: 0
    .wavefront_size: 32
    .workgroup_processor_mode: 1
  - .args:
      - .address_space:  global
        .offset:         0
        .size:           8
        .value_kind:     global_buffer
    .group_segment_fixed_size: 0
    .kernarg_segment_align: 8
    .kernarg_segment_size: 8
    .language:       OpenCL C
    .language_version:
      - 2
      - 0
    .max_flat_workgroup_size: 1024
    .name:           _Z21device_test_warp_maskILj10EEvP10TestStatus
    .private_segment_fixed_size: 0
    .sgpr_count:     37
    .sgpr_spill_count: 0
    .symbol:         _Z21device_test_warp_maskILj10EEvP10TestStatus.kd
    .uniform_work_group_size: 1
    .uses_dynamic_stack: false
    .vgpr_count:     2
    .vgpr_spill_count: 0
    .wavefront_size: 32
    .workgroup_processor_mode: 1
  - .args:
      - .address_space:  global
        .offset:         0
        .size:           8
        .value_kind:     global_buffer
    .group_segment_fixed_size: 0
    .kernarg_segment_align: 8
    .kernarg_segment_size: 8
    .language:       OpenCL C
    .language_version:
      - 2
      - 0
    .max_flat_workgroup_size: 1024
    .name:           _Z21device_test_warp_maskILj11EEvP10TestStatus
    .private_segment_fixed_size: 0
    .sgpr_count:     31
    .sgpr_spill_count: 0
    .symbol:         _Z21device_test_warp_maskILj11EEvP10TestStatus.kd
    .uniform_work_group_size: 1
    .uses_dynamic_stack: false
    .vgpr_count:     2
    .vgpr_spill_count: 0
    .wavefront_size: 32
    .workgroup_processor_mode: 1
  - .args:
      - .address_space:  global
        .offset:         0
        .size:           8
        .value_kind:     global_buffer
    .group_segment_fixed_size: 0
    .kernarg_segment_align: 8
    .kernarg_segment_size: 8
    .language:       OpenCL C
    .language_version:
      - 2
      - 0
    .max_flat_workgroup_size: 1024
    .name:           _Z21device_test_warp_maskILj12EEvP10TestStatus
    .private_segment_fixed_size: 0
    .sgpr_count:     20
    .sgpr_spill_count: 0
    .symbol:         _Z21device_test_warp_maskILj12EEvP10TestStatus.kd
    .uniform_work_group_size: 1
    .uses_dynamic_stack: false
    .vgpr_count:     2
    .vgpr_spill_count: 0
    .wavefront_size: 32
    .workgroup_processor_mode: 1
  - .args:
      - .address_space:  global
        .offset:         0
        .size:           8
        .value_kind:     global_buffer
    .group_segment_fixed_size: 0
    .kernarg_segment_align: 8
    .kernarg_segment_size: 8
    .language:       OpenCL C
    .language_version:
      - 2
      - 0
    .max_flat_workgroup_size: 1024
    .name:           _Z21device_test_warp_maskILj13EEvP10TestStatus
    .private_segment_fixed_size: 0
    .sgpr_count:     18
    .sgpr_spill_count: 0
    .symbol:         _Z21device_test_warp_maskILj13EEvP10TestStatus.kd
    .uniform_work_group_size: 1
    .uses_dynamic_stack: false
    .vgpr_count:     2
    .vgpr_spill_count: 0
    .wavefront_size: 32
    .workgroup_processor_mode: 1
  - .args:
      - .address_space:  global
        .offset:         0
        .size:           8
        .value_kind:     global_buffer
    .group_segment_fixed_size: 0
    .kernarg_segment_align: 8
    .kernarg_segment_size: 8
    .language:       OpenCL C
    .language_version:
      - 2
      - 0
    .max_flat_workgroup_size: 1024
    .name:           _Z21device_test_warp_maskILj14EEvP10TestStatus
    .private_segment_fixed_size: 0
    .sgpr_count:     39
    .sgpr_spill_count: 0
    .symbol:         _Z21device_test_warp_maskILj14EEvP10TestStatus.kd
    .uniform_work_group_size: 1
    .uses_dynamic_stack: false
    .vgpr_count:     2
    .vgpr_spill_count: 0
    .wavefront_size: 32
    .workgroup_processor_mode: 1
  - .args:
      - .address_space:  global
        .offset:         0
        .size:           8
        .value_kind:     global_buffer
    .group_segment_fixed_size: 0
    .kernarg_segment_align: 8
    .kernarg_segment_size: 8
    .language:       OpenCL C
    .language_version:
      - 2
      - 0
    .max_flat_workgroup_size: 1024
    .name:           _Z21device_test_warp_maskILj15EEvP10TestStatus
    .private_segment_fixed_size: 0
    .sgpr_count:     30
    .sgpr_spill_count: 0
    .symbol:         _Z21device_test_warp_maskILj15EEvP10TestStatus.kd
    .uniform_work_group_size: 1
    .uses_dynamic_stack: false
    .vgpr_count:     2
    .vgpr_spill_count: 0
    .wavefront_size: 32
    .workgroup_processor_mode: 1
  - .args:
      - .address_space:  global
        .offset:         0
        .size:           8
        .value_kind:     global_buffer
    .group_segment_fixed_size: 0
    .kernarg_segment_align: 8
    .kernarg_segment_size: 8
    .language:       OpenCL C
    .language_version:
      - 2
      - 0
    .max_flat_workgroup_size: 1024
    .name:           _Z21device_test_warp_maskILj16EEvP10TestStatus
    .private_segment_fixed_size: 0
    .sgpr_count:     22
    .sgpr_spill_count: 0
    .symbol:         _Z21device_test_warp_maskILj16EEvP10TestStatus.kd
    .uniform_work_group_size: 1
    .uses_dynamic_stack: false
    .vgpr_count:     9
    .vgpr_spill_count: 0
    .wavefront_size: 32
    .workgroup_processor_mode: 1
  - .args:
      - .address_space:  global
        .offset:         0
        .size:           8
        .value_kind:     global_buffer
    .group_segment_fixed_size: 0
    .kernarg_segment_align: 8
    .kernarg_segment_size: 8
    .language:       OpenCL C
    .language_version:
      - 2
      - 0
    .max_flat_workgroup_size: 1024
    .name:           _Z21device_test_warp_maskILj17EEvP10TestStatus
    .private_segment_fixed_size: 0
    .sgpr_count:     31
    .sgpr_spill_count: 0
    .symbol:         _Z21device_test_warp_maskILj17EEvP10TestStatus.kd
    .uniform_work_group_size: 1
    .uses_dynamic_stack: false
    .vgpr_count:     2
    .vgpr_spill_count: 0
    .wavefront_size: 32
    .workgroup_processor_mode: 1
  - .args:
      - .address_space:  global
        .offset:         0
        .size:           8
        .value_kind:     global_buffer
    .group_segment_fixed_size: 0
    .kernarg_segment_align: 8
    .kernarg_segment_size: 8
    .language:       OpenCL C
    .language_version:
      - 2
      - 0
    .max_flat_workgroup_size: 1024
    .name:           _Z21device_test_warp_maskILj18EEvP10TestStatus
    .private_segment_fixed_size: 0
    .sgpr_count:     13
    .sgpr_spill_count: 0
    .symbol:         _Z21device_test_warp_maskILj18EEvP10TestStatus.kd
    .uniform_work_group_size: 1
    .uses_dynamic_stack: false
    .vgpr_count:     2
    .vgpr_spill_count: 0
    .wavefront_size: 32
    .workgroup_processor_mode: 1
  - .args:
      - .address_space:  global
        .offset:         0
        .size:           8
        .value_kind:     global_buffer
    .group_segment_fixed_size: 0
    .kernarg_segment_align: 8
    .kernarg_segment_size: 8
    .language:       OpenCL C
    .language_version:
      - 2
      - 0
    .max_flat_workgroup_size: 1024
    .name:           _Z21device_test_warp_maskILj19EEvP10TestStatus
    .private_segment_fixed_size: 0
    .sgpr_count:     37
    .sgpr_spill_count: 0
    .symbol:         _Z21device_test_warp_maskILj19EEvP10TestStatus.kd
    .uniform_work_group_size: 1
    .uses_dynamic_stack: false
    .vgpr_count:     2
    .vgpr_spill_count: 0
    .wavefront_size: 32
    .workgroup_processor_mode: 1
  - .args:
      - .address_space:  global
        .offset:         0
        .size:           8
        .value_kind:     global_buffer
    .group_segment_fixed_size: 0
    .kernarg_segment_align: 8
    .kernarg_segment_size: 8
    .language:       OpenCL C
    .language_version:
      - 2
      - 0
    .max_flat_workgroup_size: 1024
    .name:           _Z21device_test_warp_maskILj20EEvP10TestStatus
    .private_segment_fixed_size: 0
    .sgpr_count:     43
    .sgpr_spill_count: 0
    .symbol:         _Z21device_test_warp_maskILj20EEvP10TestStatus.kd
    .uniform_work_group_size: 1
    .uses_dynamic_stack: false
    .vgpr_count:     2
    .vgpr_spill_count: 0
    .wavefront_size: 32
    .workgroup_processor_mode: 1
  - .args:
      - .address_space:  global
        .offset:         0
        .size:           8
        .value_kind:     global_buffer
    .group_segment_fixed_size: 0
    .kernarg_segment_align: 8
    .kernarg_segment_size: 8
    .language:       OpenCL C
    .language_version:
      - 2
      - 0
    .max_flat_workgroup_size: 1024
    .name:           _Z21device_test_warp_maskILj21EEvP10TestStatus
    .private_segment_fixed_size: 0
    .sgpr_count:     31
    .sgpr_spill_count: 0
    .symbol:         _Z21device_test_warp_maskILj21EEvP10TestStatus.kd
    .uniform_work_group_size: 1
    .uses_dynamic_stack: false
    .vgpr_count:     2
    .vgpr_spill_count: 0
    .wavefront_size: 32
    .workgroup_processor_mode: 1
  - .args:
      - .address_space:  global
        .offset:         0
        .size:           8
        .value_kind:     global_buffer
    .group_segment_fixed_size: 0
    .kernarg_segment_align: 8
    .kernarg_segment_size: 8
    .language:       OpenCL C
    .language_version:
      - 2
      - 0
    .max_flat_workgroup_size: 1024
    .name:           _Z21device_test_warp_maskILj22EEvP10TestStatus
    .private_segment_fixed_size: 0
    .sgpr_count:     30
    .sgpr_spill_count: 0
    .symbol:         _Z21device_test_warp_maskILj22EEvP10TestStatus.kd
    .uniform_work_group_size: 1
    .uses_dynamic_stack: false
    .vgpr_count:     2
    .vgpr_spill_count: 0
    .wavefront_size: 32
    .workgroup_processor_mode: 1
  - .args:
      - .address_space:  global
        .offset:         0
        .size:           8
        .value_kind:     global_buffer
    .group_segment_fixed_size: 0
    .kernarg_segment_align: 8
    .kernarg_segment_size: 8
    .language:       OpenCL C
    .language_version:
      - 2
      - 0
    .max_flat_workgroup_size: 1024
    .name:           _Z21device_test_warp_maskILj23EEvP10TestStatus
    .private_segment_fixed_size: 0
    .sgpr_count:     31
    .sgpr_spill_count: 0
    .symbol:         _Z21device_test_warp_maskILj23EEvP10TestStatus.kd
    .uniform_work_group_size: 1
    .uses_dynamic_stack: false
    .vgpr_count:     2
    .vgpr_spill_count: 0
    .wavefront_size: 32
    .workgroup_processor_mode: 1
  - .args:
      - .address_space:  global
        .offset:         0
        .size:           8
        .value_kind:     global_buffer
    .group_segment_fixed_size: 0
    .kernarg_segment_align: 8
    .kernarg_segment_size: 8
    .language:       OpenCL C
    .language_version:
      - 2
      - 0
    .max_flat_workgroup_size: 1024
    .name:           _Z21device_test_warp_maskILj24EEvP10TestStatus
    .private_segment_fixed_size: 0
    .sgpr_count:     39
    .sgpr_spill_count: 0
    .symbol:         _Z21device_test_warp_maskILj24EEvP10TestStatus.kd
    .uniform_work_group_size: 1
    .uses_dynamic_stack: false
    .vgpr_count:     2
    .vgpr_spill_count: 0
    .wavefront_size: 32
    .workgroup_processor_mode: 1
  - .args:
      - .address_space:  global
        .offset:         0
        .size:           8
        .value_kind:     global_buffer
    .group_segment_fixed_size: 0
    .kernarg_segment_align: 8
    .kernarg_segment_size: 8
    .language:       OpenCL C
    .language_version:
      - 2
      - 0
    .max_flat_workgroup_size: 1024
    .name:           _Z21device_test_warp_maskILj25EEvP10TestStatus
    .private_segment_fixed_size: 0
    .sgpr_count:     18
    .sgpr_spill_count: 0
    .symbol:         _Z21device_test_warp_maskILj25EEvP10TestStatus.kd
    .uniform_work_group_size: 1
    .uses_dynamic_stack: false
    .vgpr_count:     2
    .vgpr_spill_count: 0
    .wavefront_size: 32
    .workgroup_processor_mode: 1
  - .args:
      - .address_space:  global
        .offset:         0
        .size:           8
        .value_kind:     global_buffer
    .group_segment_fixed_size: 0
    .kernarg_segment_align: 8
    .kernarg_segment_size: 8
    .language:       OpenCL C
    .language_version:
      - 2
      - 0
    .max_flat_workgroup_size: 1024
    .name:           _Z21device_test_warp_maskILj26EEvP10TestStatus
    .private_segment_fixed_size: 0
    .sgpr_count:     13
    .sgpr_spill_count: 0
    .symbol:         _Z21device_test_warp_maskILj26EEvP10TestStatus.kd
    .uniform_work_group_size: 1
    .uses_dynamic_stack: false
    .vgpr_count:     2
    .vgpr_spill_count: 0
    .wavefront_size: 32
    .workgroup_processor_mode: 1
  - .args:
      - .address_space:  global
        .offset:         0
        .size:           8
        .value_kind:     global_buffer
    .group_segment_fixed_size: 0
    .kernarg_segment_align: 8
    .kernarg_segment_size: 8
    .language:       OpenCL C
    .language_version:
      - 2
      - 0
    .max_flat_workgroup_size: 1024
    .name:           _Z21device_test_warp_maskILj27EEvP10TestStatus
    .private_segment_fixed_size: 0
    .sgpr_count:     31
    .sgpr_spill_count: 0
    .symbol:         _Z21device_test_warp_maskILj27EEvP10TestStatus.kd
    .uniform_work_group_size: 1
    .uses_dynamic_stack: false
    .vgpr_count:     2
    .vgpr_spill_count: 0
    .wavefront_size: 32
    .workgroup_processor_mode: 1
  - .args:
      - .address_space:  global
        .offset:         0
        .size:           8
        .value_kind:     global_buffer
    .group_segment_fixed_size: 0
    .kernarg_segment_align: 8
    .kernarg_segment_size: 8
    .language:       OpenCL C
    .language_version:
      - 2
      - 0
    .max_flat_workgroup_size: 1024
    .name:           _Z21device_test_warp_maskILj28EEvP10TestStatus
    .private_segment_fixed_size: 0
    .sgpr_count:     45
    .sgpr_spill_count: 0
    .symbol:         _Z21device_test_warp_maskILj28EEvP10TestStatus.kd
    .uniform_work_group_size: 1
    .uses_dynamic_stack: false
    .vgpr_count:     2
    .vgpr_spill_count: 0
    .wavefront_size: 32
    .workgroup_processor_mode: 1
  - .args:
      - .address_space:  global
        .offset:         0
        .size:           8
        .value_kind:     global_buffer
    .group_segment_fixed_size: 0
    .kernarg_segment_align: 8
    .kernarg_segment_size: 8
    .language:       OpenCL C
    .language_version:
      - 2
      - 0
    .max_flat_workgroup_size: 1024
    .name:           _Z21device_test_warp_maskILj29EEvP10TestStatus
    .private_segment_fixed_size: 0
    .sgpr_count:     30
    .sgpr_spill_count: 0
    .symbol:         _Z21device_test_warp_maskILj29EEvP10TestStatus.kd
    .uniform_work_group_size: 1
    .uses_dynamic_stack: false
    .vgpr_count:     2
    .vgpr_spill_count: 0
    .wavefront_size: 32
    .workgroup_processor_mode: 1
  - .args:
      - .address_space:  global
        .offset:         0
        .size:           8
        .value_kind:     global_buffer
    .group_segment_fixed_size: 0
    .kernarg_segment_align: 8
    .kernarg_segment_size: 8
    .language:       OpenCL C
    .language_version:
      - 2
      - 0
    .max_flat_workgroup_size: 1024
    .name:           _Z21device_test_warp_maskILj30EEvP10TestStatus
    .private_segment_fixed_size: 0
    .sgpr_count:     13
    .sgpr_spill_count: 0
    .symbol:         _Z21device_test_warp_maskILj30EEvP10TestStatus.kd
    .uniform_work_group_size: 1
    .uses_dynamic_stack: false
    .vgpr_count:     2
    .vgpr_spill_count: 0
    .wavefront_size: 32
    .workgroup_processor_mode: 1
  - .args:
      - .address_space:  global
        .offset:         0
        .size:           8
        .value_kind:     global_buffer
    .group_segment_fixed_size: 0
    .kernarg_segment_align: 8
    .kernarg_segment_size: 8
    .language:       OpenCL C
    .language_version:
      - 2
      - 0
    .max_flat_workgroup_size: 1024
    .name:           _Z21device_test_warp_maskILj31EEvP10TestStatus
    .private_segment_fixed_size: 0
    .sgpr_count:     43
    .sgpr_spill_count: 0
    .symbol:         _Z21device_test_warp_maskILj31EEvP10TestStatus.kd
    .uniform_work_group_size: 1
    .uses_dynamic_stack: false
    .vgpr_count:     2
    .vgpr_spill_count: 0
    .wavefront_size: 32
    .workgroup_processor_mode: 1
  - .args:
      - .address_space:  global
        .offset:         0
        .size:           8
        .value_kind:     global_buffer
    .group_segment_fixed_size: 0
    .kernarg_segment_align: 8
    .kernarg_segment_size: 8
    .language:       OpenCL C
    .language_version:
      - 2
      - 0
    .max_flat_workgroup_size: 1024
    .name:           _Z21device_test_warp_maskILj32EEvP10TestStatus
    .private_segment_fixed_size: 0
    .sgpr_count:     4
    .sgpr_spill_count: 0
    .symbol:         _Z21device_test_warp_maskILj32EEvP10TestStatus.kd
    .uniform_work_group_size: 1
    .uses_dynamic_stack: false
    .vgpr_count:     2
    .vgpr_spill_count: 0
    .wavefront_size: 32
    .workgroup_processor_mode: 1
  - .args:
      - .address_space:  global
        .offset:         0
        .size:           8
        .value_kind:     global_buffer
    .group_segment_fixed_size: 0
    .kernarg_segment_align: 8
    .kernarg_segment_size: 8
    .language:       OpenCL C
    .language_version:
      - 2
      - 0
    .max_flat_workgroup_size: 1024
    .name:           _Z21device_test_warp_maskILj33EEvP10TestStatus
    .private_segment_fixed_size: 0
    .sgpr_count:     2
    .sgpr_spill_count: 0
    .symbol:         _Z21device_test_warp_maskILj33EEvP10TestStatus.kd
    .uniform_work_group_size: 1
    .uses_dynamic_stack: false
    .vgpr_count:     2
    .vgpr_spill_count: 0
    .wavefront_size: 32
    .workgroup_processor_mode: 1
  - .args:
      - .address_space:  global
        .offset:         0
        .size:           8
        .value_kind:     global_buffer
    .group_segment_fixed_size: 0
    .kernarg_segment_align: 8
    .kernarg_segment_size: 8
    .language:       OpenCL C
    .language_version:
      - 2
      - 0
    .max_flat_workgroup_size: 1024
    .name:           _Z21device_test_warp_maskILj34EEvP10TestStatus
    .private_segment_fixed_size: 0
    .sgpr_count:     2
    .sgpr_spill_count: 0
    .symbol:         _Z21device_test_warp_maskILj34EEvP10TestStatus.kd
    .uniform_work_group_size: 1
    .uses_dynamic_stack: false
    .vgpr_count:     2
    .vgpr_spill_count: 0
    .wavefront_size: 32
    .workgroup_processor_mode: 1
  - .args:
      - .address_space:  global
        .offset:         0
        .size:           8
        .value_kind:     global_buffer
    .group_segment_fixed_size: 0
    .kernarg_segment_align: 8
    .kernarg_segment_size: 8
    .language:       OpenCL C
    .language_version:
      - 2
      - 0
    .max_flat_workgroup_size: 1024
    .name:           _Z21device_test_warp_maskILj35EEvP10TestStatus
    .private_segment_fixed_size: 0
    .sgpr_count:     2
    .sgpr_spill_count: 0
    .symbol:         _Z21device_test_warp_maskILj35EEvP10TestStatus.kd
    .uniform_work_group_size: 1
    .uses_dynamic_stack: false
    .vgpr_count:     2
    .vgpr_spill_count: 0
    .wavefront_size: 32
    .workgroup_processor_mode: 1
  - .args:
      - .address_space:  global
        .offset:         0
        .size:           8
        .value_kind:     global_buffer
    .group_segment_fixed_size: 0
    .kernarg_segment_align: 8
    .kernarg_segment_size: 8
    .language:       OpenCL C
    .language_version:
      - 2
      - 0
    .max_flat_workgroup_size: 1024
    .name:           _Z21device_test_warp_maskILj36EEvP10TestStatus
    .private_segment_fixed_size: 0
    .sgpr_count:     2
    .sgpr_spill_count: 0
    .symbol:         _Z21device_test_warp_maskILj36EEvP10TestStatus.kd
    .uniform_work_group_size: 1
    .uses_dynamic_stack: false
    .vgpr_count:     2
    .vgpr_spill_count: 0
    .wavefront_size: 32
    .workgroup_processor_mode: 1
  - .args:
      - .address_space:  global
        .offset:         0
        .size:           8
        .value_kind:     global_buffer
    .group_segment_fixed_size: 0
    .kernarg_segment_align: 8
    .kernarg_segment_size: 8
    .language:       OpenCL C
    .language_version:
      - 2
      - 0
    .max_flat_workgroup_size: 1024
    .name:           _Z21device_test_warp_maskILj37EEvP10TestStatus
    .private_segment_fixed_size: 0
    .sgpr_count:     2
    .sgpr_spill_count: 0
    .symbol:         _Z21device_test_warp_maskILj37EEvP10TestStatus.kd
    .uniform_work_group_size: 1
    .uses_dynamic_stack: false
    .vgpr_count:     2
    .vgpr_spill_count: 0
    .wavefront_size: 32
    .workgroup_processor_mode: 1
  - .args:
      - .address_space:  global
        .offset:         0
        .size:           8
        .value_kind:     global_buffer
    .group_segment_fixed_size: 0
    .kernarg_segment_align: 8
    .kernarg_segment_size: 8
    .language:       OpenCL C
    .language_version:
      - 2
      - 0
    .max_flat_workgroup_size: 1024
    .name:           _Z21device_test_warp_maskILj38EEvP10TestStatus
    .private_segment_fixed_size: 0
    .sgpr_count:     2
    .sgpr_spill_count: 0
    .symbol:         _Z21device_test_warp_maskILj38EEvP10TestStatus.kd
    .uniform_work_group_size: 1
    .uses_dynamic_stack: false
    .vgpr_count:     2
    .vgpr_spill_count: 0
    .wavefront_size: 32
    .workgroup_processor_mode: 1
  - .args:
      - .address_space:  global
        .offset:         0
        .size:           8
        .value_kind:     global_buffer
    .group_segment_fixed_size: 0
    .kernarg_segment_align: 8
    .kernarg_segment_size: 8
    .language:       OpenCL C
    .language_version:
      - 2
      - 0
    .max_flat_workgroup_size: 1024
    .name:           _Z21device_test_warp_maskILj39EEvP10TestStatus
    .private_segment_fixed_size: 0
    .sgpr_count:     2
    .sgpr_spill_count: 0
    .symbol:         _Z21device_test_warp_maskILj39EEvP10TestStatus.kd
    .uniform_work_group_size: 1
    .uses_dynamic_stack: false
    .vgpr_count:     2
    .vgpr_spill_count: 0
    .wavefront_size: 32
    .workgroup_processor_mode: 1
  - .args:
      - .address_space:  global
        .offset:         0
        .size:           8
        .value_kind:     global_buffer
    .group_segment_fixed_size: 0
    .kernarg_segment_align: 8
    .kernarg_segment_size: 8
    .language:       OpenCL C
    .language_version:
      - 2
      - 0
    .max_flat_workgroup_size: 1024
    .name:           _Z21device_test_warp_maskILj40EEvP10TestStatus
    .private_segment_fixed_size: 0
    .sgpr_count:     2
    .sgpr_spill_count: 0
    .symbol:         _Z21device_test_warp_maskILj40EEvP10TestStatus.kd
    .uniform_work_group_size: 1
    .uses_dynamic_stack: false
    .vgpr_count:     2
    .vgpr_spill_count: 0
    .wavefront_size: 32
    .workgroup_processor_mode: 1
  - .args:
      - .address_space:  global
        .offset:         0
        .size:           8
        .value_kind:     global_buffer
    .group_segment_fixed_size: 0
    .kernarg_segment_align: 8
    .kernarg_segment_size: 8
    .language:       OpenCL C
    .language_version:
      - 2
      - 0
    .max_flat_workgroup_size: 1024
    .name:           _Z21device_test_warp_maskILj41EEvP10TestStatus
    .private_segment_fixed_size: 0
    .sgpr_count:     2
    .sgpr_spill_count: 0
    .symbol:         _Z21device_test_warp_maskILj41EEvP10TestStatus.kd
    .uniform_work_group_size: 1
    .uses_dynamic_stack: false
    .vgpr_count:     2
    .vgpr_spill_count: 0
    .wavefront_size: 32
    .workgroup_processor_mode: 1
  - .args:
      - .address_space:  global
        .offset:         0
        .size:           8
        .value_kind:     global_buffer
    .group_segment_fixed_size: 0
    .kernarg_segment_align: 8
    .kernarg_segment_size: 8
    .language:       OpenCL C
    .language_version:
      - 2
      - 0
    .max_flat_workgroup_size: 1024
    .name:           _Z21device_test_warp_maskILj42EEvP10TestStatus
    .private_segment_fixed_size: 0
    .sgpr_count:     2
    .sgpr_spill_count: 0
    .symbol:         _Z21device_test_warp_maskILj42EEvP10TestStatus.kd
    .uniform_work_group_size: 1
    .uses_dynamic_stack: false
    .vgpr_count:     2
    .vgpr_spill_count: 0
    .wavefront_size: 32
    .workgroup_processor_mode: 1
  - .args:
      - .address_space:  global
        .offset:         0
        .size:           8
        .value_kind:     global_buffer
    .group_segment_fixed_size: 0
    .kernarg_segment_align: 8
    .kernarg_segment_size: 8
    .language:       OpenCL C
    .language_version:
      - 2
      - 0
    .max_flat_workgroup_size: 1024
    .name:           _Z21device_test_warp_maskILj43EEvP10TestStatus
    .private_segment_fixed_size: 0
    .sgpr_count:     2
    .sgpr_spill_count: 0
    .symbol:         _Z21device_test_warp_maskILj43EEvP10TestStatus.kd
    .uniform_work_group_size: 1
    .uses_dynamic_stack: false
    .vgpr_count:     2
    .vgpr_spill_count: 0
    .wavefront_size: 32
    .workgroup_processor_mode: 1
  - .args:
      - .address_space:  global
        .offset:         0
        .size:           8
        .value_kind:     global_buffer
    .group_segment_fixed_size: 0
    .kernarg_segment_align: 8
    .kernarg_segment_size: 8
    .language:       OpenCL C
    .language_version:
      - 2
      - 0
    .max_flat_workgroup_size: 1024
    .name:           _Z21device_test_warp_maskILj44EEvP10TestStatus
    .private_segment_fixed_size: 0
    .sgpr_count:     2
    .sgpr_spill_count: 0
    .symbol:         _Z21device_test_warp_maskILj44EEvP10TestStatus.kd
    .uniform_work_group_size: 1
    .uses_dynamic_stack: false
    .vgpr_count:     2
    .vgpr_spill_count: 0
    .wavefront_size: 32
    .workgroup_processor_mode: 1
  - .args:
      - .address_space:  global
        .offset:         0
        .size:           8
        .value_kind:     global_buffer
    .group_segment_fixed_size: 0
    .kernarg_segment_align: 8
    .kernarg_segment_size: 8
    .language:       OpenCL C
    .language_version:
      - 2
      - 0
    .max_flat_workgroup_size: 1024
    .name:           _Z21device_test_warp_maskILj45EEvP10TestStatus
    .private_segment_fixed_size: 0
    .sgpr_count:     2
    .sgpr_spill_count: 0
    .symbol:         _Z21device_test_warp_maskILj45EEvP10TestStatus.kd
    .uniform_work_group_size: 1
    .uses_dynamic_stack: false
    .vgpr_count:     2
    .vgpr_spill_count: 0
    .wavefront_size: 32
    .workgroup_processor_mode: 1
  - .args:
      - .address_space:  global
        .offset:         0
        .size:           8
        .value_kind:     global_buffer
    .group_segment_fixed_size: 0
    .kernarg_segment_align: 8
    .kernarg_segment_size: 8
    .language:       OpenCL C
    .language_version:
      - 2
      - 0
    .max_flat_workgroup_size: 1024
    .name:           _Z21device_test_warp_maskILj46EEvP10TestStatus
    .private_segment_fixed_size: 0
    .sgpr_count:     2
    .sgpr_spill_count: 0
    .symbol:         _Z21device_test_warp_maskILj46EEvP10TestStatus.kd
    .uniform_work_group_size: 1
    .uses_dynamic_stack: false
    .vgpr_count:     2
    .vgpr_spill_count: 0
    .wavefront_size: 32
    .workgroup_processor_mode: 1
  - .args:
      - .address_space:  global
        .offset:         0
        .size:           8
        .value_kind:     global_buffer
    .group_segment_fixed_size: 0
    .kernarg_segment_align: 8
    .kernarg_segment_size: 8
    .language:       OpenCL C
    .language_version:
      - 2
      - 0
    .max_flat_workgroup_size: 1024
    .name:           _Z21device_test_warp_maskILj47EEvP10TestStatus
    .private_segment_fixed_size: 0
    .sgpr_count:     2
    .sgpr_spill_count: 0
    .symbol:         _Z21device_test_warp_maskILj47EEvP10TestStatus.kd
    .uniform_work_group_size: 1
    .uses_dynamic_stack: false
    .vgpr_count:     2
    .vgpr_spill_count: 0
    .wavefront_size: 32
    .workgroup_processor_mode: 1
  - .args:
      - .address_space:  global
        .offset:         0
        .size:           8
        .value_kind:     global_buffer
    .group_segment_fixed_size: 0
    .kernarg_segment_align: 8
    .kernarg_segment_size: 8
    .language:       OpenCL C
    .language_version:
      - 2
      - 0
    .max_flat_workgroup_size: 1024
    .name:           _Z21device_test_warp_maskILj48EEvP10TestStatus
    .private_segment_fixed_size: 0
    .sgpr_count:     2
    .sgpr_spill_count: 0
    .symbol:         _Z21device_test_warp_maskILj48EEvP10TestStatus.kd
    .uniform_work_group_size: 1
    .uses_dynamic_stack: false
    .vgpr_count:     2
    .vgpr_spill_count: 0
    .wavefront_size: 32
    .workgroup_processor_mode: 1
  - .args:
      - .address_space:  global
        .offset:         0
        .size:           8
        .value_kind:     global_buffer
    .group_segment_fixed_size: 0
    .kernarg_segment_align: 8
    .kernarg_segment_size: 8
    .language:       OpenCL C
    .language_version:
      - 2
      - 0
    .max_flat_workgroup_size: 1024
    .name:           _Z21device_test_warp_maskILj49EEvP10TestStatus
    .private_segment_fixed_size: 0
    .sgpr_count:     2
    .sgpr_spill_count: 0
    .symbol:         _Z21device_test_warp_maskILj49EEvP10TestStatus.kd
    .uniform_work_group_size: 1
    .uses_dynamic_stack: false
    .vgpr_count:     2
    .vgpr_spill_count: 0
    .wavefront_size: 32
    .workgroup_processor_mode: 1
  - .args:
      - .address_space:  global
        .offset:         0
        .size:           8
        .value_kind:     global_buffer
    .group_segment_fixed_size: 0
    .kernarg_segment_align: 8
    .kernarg_segment_size: 8
    .language:       OpenCL C
    .language_version:
      - 2
      - 0
    .max_flat_workgroup_size: 1024
    .name:           _Z21device_test_warp_maskILj50EEvP10TestStatus
    .private_segment_fixed_size: 0
    .sgpr_count:     2
    .sgpr_spill_count: 0
    .symbol:         _Z21device_test_warp_maskILj50EEvP10TestStatus.kd
    .uniform_work_group_size: 1
    .uses_dynamic_stack: false
    .vgpr_count:     2
    .vgpr_spill_count: 0
    .wavefront_size: 32
    .workgroup_processor_mode: 1
  - .args:
      - .address_space:  global
        .offset:         0
        .size:           8
        .value_kind:     global_buffer
    .group_segment_fixed_size: 0
    .kernarg_segment_align: 8
    .kernarg_segment_size: 8
    .language:       OpenCL C
    .language_version:
      - 2
      - 0
    .max_flat_workgroup_size: 1024
    .name:           _Z21device_test_warp_maskILj51EEvP10TestStatus
    .private_segment_fixed_size: 0
    .sgpr_count:     2
    .sgpr_spill_count: 0
    .symbol:         _Z21device_test_warp_maskILj51EEvP10TestStatus.kd
    .uniform_work_group_size: 1
    .uses_dynamic_stack: false
    .vgpr_count:     2
    .vgpr_spill_count: 0
    .wavefront_size: 32
    .workgroup_processor_mode: 1
  - .args:
      - .address_space:  global
        .offset:         0
        .size:           8
        .value_kind:     global_buffer
    .group_segment_fixed_size: 0
    .kernarg_segment_align: 8
    .kernarg_segment_size: 8
    .language:       OpenCL C
    .language_version:
      - 2
      - 0
    .max_flat_workgroup_size: 1024
    .name:           _Z21device_test_warp_maskILj52EEvP10TestStatus
    .private_segment_fixed_size: 0
    .sgpr_count:     2
    .sgpr_spill_count: 0
    .symbol:         _Z21device_test_warp_maskILj52EEvP10TestStatus.kd
    .uniform_work_group_size: 1
    .uses_dynamic_stack: false
    .vgpr_count:     2
    .vgpr_spill_count: 0
    .wavefront_size: 32
    .workgroup_processor_mode: 1
  - .args:
      - .address_space:  global
        .offset:         0
        .size:           8
        .value_kind:     global_buffer
    .group_segment_fixed_size: 0
    .kernarg_segment_align: 8
    .kernarg_segment_size: 8
    .language:       OpenCL C
    .language_version:
      - 2
      - 0
    .max_flat_workgroup_size: 1024
    .name:           _Z21device_test_warp_maskILj53EEvP10TestStatus
    .private_segment_fixed_size: 0
    .sgpr_count:     2
    .sgpr_spill_count: 0
    .symbol:         _Z21device_test_warp_maskILj53EEvP10TestStatus.kd
    .uniform_work_group_size: 1
    .uses_dynamic_stack: false
    .vgpr_count:     2
    .vgpr_spill_count: 0
    .wavefront_size: 32
    .workgroup_processor_mode: 1
  - .args:
      - .address_space:  global
        .offset:         0
        .size:           8
        .value_kind:     global_buffer
    .group_segment_fixed_size: 0
    .kernarg_segment_align: 8
    .kernarg_segment_size: 8
    .language:       OpenCL C
    .language_version:
      - 2
      - 0
    .max_flat_workgroup_size: 1024
    .name:           _Z21device_test_warp_maskILj54EEvP10TestStatus
    .private_segment_fixed_size: 0
    .sgpr_count:     2
    .sgpr_spill_count: 0
    .symbol:         _Z21device_test_warp_maskILj54EEvP10TestStatus.kd
    .uniform_work_group_size: 1
    .uses_dynamic_stack: false
    .vgpr_count:     2
    .vgpr_spill_count: 0
    .wavefront_size: 32
    .workgroup_processor_mode: 1
  - .args:
      - .address_space:  global
        .offset:         0
        .size:           8
        .value_kind:     global_buffer
    .group_segment_fixed_size: 0
    .kernarg_segment_align: 8
    .kernarg_segment_size: 8
    .language:       OpenCL C
    .language_version:
      - 2
      - 0
    .max_flat_workgroup_size: 1024
    .name:           _Z21device_test_warp_maskILj55EEvP10TestStatus
    .private_segment_fixed_size: 0
    .sgpr_count:     2
    .sgpr_spill_count: 0
    .symbol:         _Z21device_test_warp_maskILj55EEvP10TestStatus.kd
    .uniform_work_group_size: 1
    .uses_dynamic_stack: false
    .vgpr_count:     2
    .vgpr_spill_count: 0
    .wavefront_size: 32
    .workgroup_processor_mode: 1
  - .args:
      - .address_space:  global
        .offset:         0
        .size:           8
        .value_kind:     global_buffer
    .group_segment_fixed_size: 0
    .kernarg_segment_align: 8
    .kernarg_segment_size: 8
    .language:       OpenCL C
    .language_version:
      - 2
      - 0
    .max_flat_workgroup_size: 1024
    .name:           _Z21device_test_warp_maskILj56EEvP10TestStatus
    .private_segment_fixed_size: 0
    .sgpr_count:     2
    .sgpr_spill_count: 0
    .symbol:         _Z21device_test_warp_maskILj56EEvP10TestStatus.kd
    .uniform_work_group_size: 1
    .uses_dynamic_stack: false
    .vgpr_count:     2
    .vgpr_spill_count: 0
    .wavefront_size: 32
    .workgroup_processor_mode: 1
  - .args:
      - .address_space:  global
        .offset:         0
        .size:           8
        .value_kind:     global_buffer
    .group_segment_fixed_size: 0
    .kernarg_segment_align: 8
    .kernarg_segment_size: 8
    .language:       OpenCL C
    .language_version:
      - 2
      - 0
    .max_flat_workgroup_size: 1024
    .name:           _Z21device_test_warp_maskILj57EEvP10TestStatus
    .private_segment_fixed_size: 0
    .sgpr_count:     2
    .sgpr_spill_count: 0
    .symbol:         _Z21device_test_warp_maskILj57EEvP10TestStatus.kd
    .uniform_work_group_size: 1
    .uses_dynamic_stack: false
    .vgpr_count:     2
    .vgpr_spill_count: 0
    .wavefront_size: 32
    .workgroup_processor_mode: 1
  - .args:
      - .address_space:  global
        .offset:         0
        .size:           8
        .value_kind:     global_buffer
    .group_segment_fixed_size: 0
    .kernarg_segment_align: 8
    .kernarg_segment_size: 8
    .language:       OpenCL C
    .language_version:
      - 2
      - 0
    .max_flat_workgroup_size: 1024
    .name:           _Z21device_test_warp_maskILj58EEvP10TestStatus
    .private_segment_fixed_size: 0
    .sgpr_count:     2
    .sgpr_spill_count: 0
    .symbol:         _Z21device_test_warp_maskILj58EEvP10TestStatus.kd
    .uniform_work_group_size: 1
    .uses_dynamic_stack: false
    .vgpr_count:     2
    .vgpr_spill_count: 0
    .wavefront_size: 32
    .workgroup_processor_mode: 1
  - .args:
      - .address_space:  global
        .offset:         0
        .size:           8
        .value_kind:     global_buffer
    .group_segment_fixed_size: 0
    .kernarg_segment_align: 8
    .kernarg_segment_size: 8
    .language:       OpenCL C
    .language_version:
      - 2
      - 0
    .max_flat_workgroup_size: 1024
    .name:           _Z21device_test_warp_maskILj59EEvP10TestStatus
    .private_segment_fixed_size: 0
    .sgpr_count:     2
    .sgpr_spill_count: 0
    .symbol:         _Z21device_test_warp_maskILj59EEvP10TestStatus.kd
    .uniform_work_group_size: 1
    .uses_dynamic_stack: false
    .vgpr_count:     2
    .vgpr_spill_count: 0
    .wavefront_size: 32
    .workgroup_processor_mode: 1
  - .args:
      - .address_space:  global
        .offset:         0
        .size:           8
        .value_kind:     global_buffer
    .group_segment_fixed_size: 0
    .kernarg_segment_align: 8
    .kernarg_segment_size: 8
    .language:       OpenCL C
    .language_version:
      - 2
      - 0
    .max_flat_workgroup_size: 1024
    .name:           _Z21device_test_warp_maskILj60EEvP10TestStatus
    .private_segment_fixed_size: 0
    .sgpr_count:     2
    .sgpr_spill_count: 0
    .symbol:         _Z21device_test_warp_maskILj60EEvP10TestStatus.kd
    .uniform_work_group_size: 1
    .uses_dynamic_stack: false
    .vgpr_count:     2
    .vgpr_spill_count: 0
    .wavefront_size: 32
    .workgroup_processor_mode: 1
  - .args:
      - .address_space:  global
        .offset:         0
        .size:           8
        .value_kind:     global_buffer
    .group_segment_fixed_size: 0
    .kernarg_segment_align: 8
    .kernarg_segment_size: 8
    .language:       OpenCL C
    .language_version:
      - 2
      - 0
    .max_flat_workgroup_size: 1024
    .name:           _Z21device_test_warp_maskILj61EEvP10TestStatus
    .private_segment_fixed_size: 0
    .sgpr_count:     2
    .sgpr_spill_count: 0
    .symbol:         _Z21device_test_warp_maskILj61EEvP10TestStatus.kd
    .uniform_work_group_size: 1
    .uses_dynamic_stack: false
    .vgpr_count:     2
    .vgpr_spill_count: 0
    .wavefront_size: 32
    .workgroup_processor_mode: 1
  - .args:
      - .address_space:  global
        .offset:         0
        .size:           8
        .value_kind:     global_buffer
    .group_segment_fixed_size: 0
    .kernarg_segment_align: 8
    .kernarg_segment_size: 8
    .language:       OpenCL C
    .language_version:
      - 2
      - 0
    .max_flat_workgroup_size: 1024
    .name:           _Z21device_test_warp_maskILj62EEvP10TestStatus
    .private_segment_fixed_size: 0
    .sgpr_count:     2
    .sgpr_spill_count: 0
    .symbol:         _Z21device_test_warp_maskILj62EEvP10TestStatus.kd
    .uniform_work_group_size: 1
    .uses_dynamic_stack: false
    .vgpr_count:     2
    .vgpr_spill_count: 0
    .wavefront_size: 32
    .workgroup_processor_mode: 1
  - .args:
      - .address_space:  global
        .offset:         0
        .size:           8
        .value_kind:     global_buffer
    .group_segment_fixed_size: 0
    .kernarg_segment_align: 8
    .kernarg_segment_size: 8
    .language:       OpenCL C
    .language_version:
      - 2
      - 0
    .max_flat_workgroup_size: 1024
    .name:           _Z21device_test_warp_maskILj63EEvP10TestStatus
    .private_segment_fixed_size: 0
    .sgpr_count:     2
    .sgpr_spill_count: 0
    .symbol:         _Z21device_test_warp_maskILj63EEvP10TestStatus.kd
    .uniform_work_group_size: 1
    .uses_dynamic_stack: false
    .vgpr_count:     2
    .vgpr_spill_count: 0
    .wavefront_size: 32
    .workgroup_processor_mode: 1
  - .args:
      - .address_space:  global
        .offset:         0
        .size:           8
        .value_kind:     global_buffer
    .group_segment_fixed_size: 0
    .kernarg_segment_align: 8
    .kernarg_segment_size: 8
    .language:       OpenCL C
    .language_version:
      - 2
      - 0
    .max_flat_workgroup_size: 1024
    .name:           _Z21device_test_warp_maskILj64EEvP10TestStatus
    .private_segment_fixed_size: 0
    .sgpr_count:     2
    .sgpr_spill_count: 0
    .symbol:         _Z21device_test_warp_maskILj64EEvP10TestStatus.kd
    .uniform_work_group_size: 1
    .uses_dynamic_stack: false
    .vgpr_count:     2
    .vgpr_spill_count: 0
    .wavefront_size: 32
    .workgroup_processor_mode: 1
amdhsa.target:   amdgcn-amd-amdhsa--gfx1100
amdhsa.version:
  - 1
  - 2
...

	.end_amdgpu_metadata
